;; amdgpu-corpus repo=LLNL/RAJAPerf kind=compiled arch=gfx942 opt=O3
	.text
	.amdgcn_target "amdgcn-amd-amdhsa--gfx942"
	.amdhsa_code_object_version 6
	.section	.text._ZN8rajaperf4apps16intsc_hexhex_hipILm64EEEvPdS2_mS2_,"axG",@progbits,_ZN8rajaperf4apps16intsc_hexhex_hipILm64EEEvPdS2_mS2_,comdat
	.protected	_ZN8rajaperf4apps16intsc_hexhex_hipILm64EEEvPdS2_mS2_ ; -- Begin function _ZN8rajaperf4apps16intsc_hexhex_hipILm64EEEvPdS2_mS2_
	.globl	_ZN8rajaperf4apps16intsc_hexhex_hipILm64EEEvPdS2_mS2_
	.p2align	8
	.type	_ZN8rajaperf4apps16intsc_hexhex_hipILm64EEEvPdS2_mS2_,@function
_ZN8rajaperf4apps16intsc_hexhex_hipILm64EEEvPdS2_mS2_: ; @_ZN8rajaperf4apps16intsc_hexhex_hipILm64EEEvPdS2_mS2_
; %bb.0:
	s_mov_b32 s3, 0
	s_lshl_b64 s[52:53], s[2:3], 6
	s_load_dwordx8 s[44:51], s[0:1], 0x0
	s_add_u32 s0, 0, 0x8e389f80
	s_addc_u32 s1, 0, 15
	s_add_i32 s1, s1, 0x38e38d4
	s_mul_hi_u32 s5, s0, 0xffffffb8
	s_sub_i32 s5, s5, s0
	s_mul_i32 s6, s1, 0xffffffb8
	s_mul_i32 s2, s0, 0xffffffb8
	s_add_i32 s5, s5, s6
	s_mul_hi_u32 s3, s1, s2
	s_mul_i32 s4, s1, s2
	s_mul_i32 s7, s0, s5
	s_mul_hi_u32 s2, s0, s2
	s_mul_hi_u32 s6, s0, s5
	s_add_u32 s2, s2, s7
	s_addc_u32 s6, 0, s6
	s_add_u32 s2, s2, s4
	s_mul_hi_u32 s7, s1, s5
	s_addc_u32 s2, s6, s3
	s_addc_u32 s3, s7, 0
	s_mul_i32 s4, s1, s5
	s_add_u32 s2, s2, s4
	v_mov_b32_e32 v2, s2
	s_addc_u32 s3, 0, s3
	v_add_co_u32_e32 v6, vcc, s0, v2
	v_mov_b32_e32 v46, v0
	s_cmp_lg_u64 vcc, 0
	v_mov_b32_e32 v47, 0
	v_or_b32_e32 v0, s52, v46
	s_addc_u32 s2, s1, s3
	v_mad_u64_u32 v[2:3], s[0:1], v0, s2, 0
	v_mul_hi_u32 v4, v0, v6
	v_mov_b32_e32 v5, v47
	v_lshl_add_u64 v[2:3], v[4:5], 0, v[2:3]
	v_mul_lo_u32 v5, s53, v6
	s_mul_hi_u32 s0, s53, s2
	v_mul_hi_u32 v4, s53, v6
	v_add_co_u32_e32 v2, vcc, v2, v5
	v_mov_b32_e32 v1, s53
	s_nop 0
	v_addc_co_u32_e32 v2, vcc, v3, v4, vcc
	v_mov_b32_e32 v3, s0
	s_mul_i32 s0, s53, s2
	v_addc_co_u32_e32 v5, vcc, 0, v3, vcc
	v_mov_b32_e32 v4, s0
	v_mov_b32_e32 v3, v47
	v_lshl_add_u64 v[2:3], v[2:3], 0, v[4:5]
	s_movk_i32 s2, 0x48
	v_mad_u64_u32 v[4:5], s[0:1], v2, s2, 0
	v_mov_b32_e32 v6, v5
	v_mad_u64_u32 v[6:7], s[0:1], v3, s2, v[6:7]
	v_sub_co_u32_e32 v8, vcc, v0, v4
	s_movk_i32 s0, 0x47
	s_nop 0
	v_subb_co_u32_e32 v1, vcc, v1, v6, vcc
	v_subrev_co_u32_e32 v4, vcc, s2, v8
	v_lshl_add_u64 v[6:7], v[2:3], 0, 1
	s_nop 0
	v_subbrev_co_u32_e32 v5, vcc, 0, v1, vcc
	v_cmp_lt_u32_e32 vcc, s0, v4
	v_cmp_lt_u32_e64 s[0:1], s0, v8
	v_mov_b64_e32 v[20:21], 0
	v_cndmask_b32_e64 v4, 0, -1, vcc
	v_cmp_eq_u32_e32 vcc, 0, v5
	s_mov_b64 s[8:9], 0
	v_mov_b64_e32 v[18:19], v[20:21]
	v_cndmask_b32_e32 v9, -1, v4, vcc
	v_lshl_add_u64 v[4:5], v[2:3], 0, 2
	v_cmp_ne_u32_e32 vcc, 0, v9
	v_mov_b64_e32 v[16:17], v[20:21]
	v_mov_b64_e32 v[22:23], v[20:21]
	v_cndmask_b32_e32 v5, v7, v5, vcc
	v_cndmask_b32_e64 v7, 0, -1, s[0:1]
	v_cmp_eq_u32_e64 s[0:1], 0, v1
	s_nop 1
	v_cndmask_b32_e64 v1, -1, v7, s[0:1]
	v_cmp_ne_u32_e64 s[0:1], 0, v1
	v_cndmask_b32_e32 v1, v6, v4, vcc
	s_nop 0
	v_cndmask_b32_e64 v25, v3, v5, s[0:1]
	v_cndmask_b32_e64 v24, v2, v1, s[0:1]
	s_waitcnt lgkmcnt(0)
	v_cmp_gt_u64_e32 vcc, s[48:49], v[24:25]
	s_and_saveexec_b64 s[48:49], vcc
	s_cbranch_execz .LBB0_123
; %bb.1:
	s_add_u32 s0, 0, 0xaaa80000
	s_addc_u32 s1, 0, 0xaa
	s_add_i32 s1, s1, 0x2aaaaa00
	s_mul_hi_u32 s5, s0, -6
	s_sub_i32 s5, s5, s0
	s_mul_i32 s6, s1, -6
	s_mul_i32 s2, s0, -6
	s_add_i32 s5, s5, s6
	s_mul_hi_u32 s3, s1, s2
	s_mul_i32 s4, s1, s2
	s_mul_i32 s7, s0, s5
	s_mul_hi_u32 s2, s0, s2
	s_mul_hi_u32 s6, s0, s5
	s_add_u32 s2, s2, s7
	s_addc_u32 s6, 0, s6
	s_add_u32 s2, s2, s4
	s_mul_hi_u32 s7, s1, s5
	s_addc_u32 s2, s6, s3
	s_addc_u32 s3, s7, 0
	s_mul_i32 s4, s1, s5
	s_add_u32 s2, s2, s4
	v_mov_b32_e32 v1, s2
	s_addc_u32 s3, 0, s3
	v_add_co_u32_e32 v1, vcc, s0, v1
	s_cmp_lg_u64 vcc, 0
	s_addc_u32 s2, s1, s3
	v_mad_u64_u32 v[2:3], s[0:1], v0, s2, 0
	v_mul_hi_u32 v4, v0, v1
	v_mov_b32_e32 v5, v47
	v_lshl_add_u64 v[2:3], v[4:5], 0, v[2:3]
	v_mad_u64_u32 v[6:7], s[0:1], s53, v1, 0
	v_mov_b32_e32 v8, s53
	v_add_co_u32_e32 v1, vcc, v2, v6
	v_mad_u64_u32 v[4:5], s[0:1], v8, s2, 0
	s_nop 0
	v_addc_co_u32_e32 v2, vcc, v3, v7, vcc
	v_mov_b32_e32 v3, v47
	s_nop 0
	v_addc_co_u32_e32 v5, vcc, 0, v5, vcc
	v_lshl_add_u64 v[2:3], v[2:3], 0, v[4:5]
	v_mad_u64_u32 v[4:5], s[0:1], v2, 6, 0
	v_mov_b32_e32 v6, v5
	v_mad_u64_u32 v[6:7], s[0:1], v3, 6, v[6:7]
	v_sub_co_u32_e32 v1, vcc, v0, v4
	v_cmp_lt_u32_e64 s[0:1], 5, v1
	s_nop 0
	v_subb_co_u32_e32 v8, vcc, v8, v6, vcc
	v_subrev_co_u32_e32 v4, vcc, 6, v1
	v_cndmask_b32_e64 v1, 0, -1, s[0:1]
	s_nop 0
	v_subbrev_co_u32_e32 v5, vcc, 0, v8, vcc
	v_cmp_lt_u32_e32 vcc, 5, v4
	v_cmp_eq_u32_e64 s[0:1], 0, v8
	v_lshl_add_u64 v[6:7], v[2:3], 0, 1
	v_cndmask_b32_e64 v4, 0, -1, vcc
	v_cmp_eq_u32_e32 vcc, 0, v5
	v_cndmask_b32_e64 v1, -1, v1, s[0:1]
	v_cmp_ne_u32_e64 s[0:1], 0, v1
	v_cndmask_b32_e32 v9, -1, v4, vcc
	v_lshl_add_u64 v[4:5], v[2:3], 0, 2
	v_cmp_ne_u32_e32 vcc, 0, v9
	s_mov_b32 s2, 0x55555555
	s_mov_b32 s3, 0x15555555
	v_cndmask_b32_e32 v1, v6, v4, vcc
	v_cndmask_b32_e32 v5, v7, v5, vcc
	v_cndmask_b32_e64 v10, v2, v1, s[0:1]
	v_cndmask_b32_e64 v9, v3, v5, s[0:1]
	v_mad_u64_u32 v[2:3], s[0:1], v10, 6, 0
	v_mov_b32_e32 v4, v3
	v_mad_u64_u32 v[4:5], s[0:1], v9, 6, v[4:5]
	v_mov_b32_e32 v1, v4
	v_mov_b32_e32 v3, s53
	v_sub_co_u32_e32 v0, vcc, v0, v2
	s_getpc_b64 s[0:1]
	s_add_u32 s0, s0, __const._ZN8rajaperf14hex_intsc_subzEPKdS1_iiRdS2_S2_S2_.vert_cyc@rel32@lo+4
	s_addc_u32 s1, s1, __const._ZN8rajaperf14hex_intsc_subzEPKdS1_iiRdS2_S2_S2_.vert_cyc@rel32@hi+12
	v_subb_co_u32_e32 v1, vcc, v3, v1, vcc
	v_lshl_add_u64 v[2:3], v[0:1], 2, s[0:1]
	v_cmp_gt_u64_e32 vcc, 5, v[0:1]
	v_not_b32_e32 v0, 19
	v_mul_hi_u32 v6, v10, s2
	v_cndmask_b32_e64 v1, -1, 0, vcc
	v_cndmask_b32_e64 v0, v0, 4, vcc
	v_lshl_add_u64 v[0:1], v[2:3], 0, v[0:1]
	global_load_dword v4, v[2:3], off
	global_load_dword v8, v[0:1], off
	v_mad_u64_u32 v[2:3], s[0:1], v10, s3, 0
	v_mov_b32_e32 v7, v47
	v_mad_u64_u32 v[0:1], s[0:1], v9, s2, 0
	v_lshl_add_u64 v[2:3], v[6:7], 0, v[2:3]
	v_add_co_u32_e32 v0, vcc, v2, v0
	v_mad_u64_u32 v[6:7], s[0:1], v9, s3, 0
	s_nop 0
	v_addc_co_u32_e32 v0, vcc, v3, v1, vcc
	v_mov_b32_e32 v1, v47
	s_nop 0
	v_addc_co_u32_e32 v7, vcc, 0, v7, vcc
	v_lshl_add_u64 v[0:1], v[0:1], 0, v[6:7]
	v_mad_u64_u32 v[2:3], s[0:1], v0, 12, 0
	v_mov_b32_e32 v0, v3
	v_mad_u64_u32 v[0:1], s[0:1], v1, 12, v[0:1]
	v_sub_co_u32_e32 v2, vcc, v10, v2
	v_cmp_lt_u32_e64 s[0:1], 11, v2
	s_nop 0
	v_subb_co_u32_e32 v0, vcc, v9, v0, vcc
	v_subrev_co_u32_e32 v3, vcc, 12, v2
	s_movk_i32 s2, 0xc0
	s_nop 0
	v_subbrev_co_u32_e32 v1, vcc, 0, v0, vcc
	v_subrev_co_u32_e32 v5, vcc, 12, v3
	v_mul_lo_u32 v15, v25, s2
	s_nop 0
	v_subbrev_co_u32_e32 v6, vcc, 0, v1, vcc
	v_cmp_lt_u32_e32 vcc, 11, v3
	v_mov_b32_e32 v21, v47
	v_mov_b32_e32 v156, -1
	v_cndmask_b32_e64 v7, 0, -1, vcc
	v_cmp_eq_u32_e32 vcc, 0, v1
	v_mov_b32_e32 v157, 4
	v_mov_b32_e32 v154, 1
	v_cndmask_b32_e32 v7, -1, v7, vcc
	v_cmp_ne_u32_e32 vcc, 0, v7
	v_mov_b32_e32 v155, 2
	v_mov_b32_e32 v166, v156
	v_cndmask_b32_e32 v1, v1, v6, vcc
	v_cndmask_b32_e64 v6, 0, -1, s[0:1]
	v_cmp_eq_u32_e64 s[0:1], 0, v0
	v_mov_b32_e32 v167, v156
                                        ; implicit-def: $sgpr36_sgpr37
	s_waitcnt vmcnt(0)
	v_ashrrev_i32_e32 v9, 31, v8
	v_cndmask_b32_e64 v6, -1, v6, s[0:1]
	v_cmp_ne_u32_e64 s[0:1], 0, v6
	s_nop 1
	v_cndmask_b32_e64 v1, v0, v1, s[0:1]
	v_cndmask_b32_e32 v0, v3, v5, vcc
	v_cndmask_b32_e64 v0, v2, v0, s[0:1]
	v_sub_u32_e32 v3, 12, v0
	v_cmp_gt_u64_e32 vcc, 6, v[0:1]
	v_add_u32_e32 v2, 1, v0
	s_getpc_b64 s[0:1]
	s_add_u32 s0, s0, __const._ZN8rajaperf14hex_intsc_subzEPKdS1_iiRdS2_S2_S2_.cyc_nod@rel32@lo+4
	s_addc_u32 s1, s1, __const._ZN8rajaperf14hex_intsc_subzEPKdS1_iiRdS2_S2_S2_.cyc_nod@rel32@hi+12
	v_cndmask_b32_e32 v1, v3, v0, vcc
	v_lshlrev_b32_e32 v1, 2, v1
	v_sub_u32_e32 v0, 11, v0
	global_load_dword v16, v1, s[0:1]
	v_cndmask_b32_e32 v0, v0, v2, vcc
	v_lshlrev_b32_e32 v0, 2, v0
	global_load_dword v14, v0, s[0:1]
	v_mov_b32_e32 v0, s46
	v_mov_b32_e32 v1, s47
	v_mad_u64_u32 v[10:11], s[0:1], v24, s2, v[0:1]
	v_add_u32_e32 v11, v15, v11
	v_ashrrev_i32_e32 v5, 31, v4
	global_load_dwordx2 v[56:57], v[10:11], off
	global_load_dwordx4 v[52:55], v[10:11], off offset:56
	global_load_dwordx4 v[48:51], v[10:11], off offset:120
	v_lshl_add_u64 v[12:13], v[4:5], 3, v[10:11]
	v_lshl_add_u64 v[18:19], v[8:9], 3, v[10:11]
	global_load_dwordx2 v[6:7], v[10:11], off offset:184
	global_load_dwordx2 v[0:1], v[12:13], off
	global_load_dwordx2 v[2:3], v[12:13], off offset:64
	global_load_dwordx2 v[4:5], v[12:13], off offset:128
	global_load_dwordx2 v[8:9], v[18:19], off
	s_nop 0
	global_load_dwordx2 v[10:11], v[18:19], off offset:64
	global_load_dwordx2 v[12:13], v[18:19], off offset:128
	v_mov_b32_e32 v18, s44
	v_mov_b32_e32 v19, s45
	s_movk_i32 s0, 0x122c
	scratch_store_dwordx2 off, v[24:25], s0 ; 8-byte Folded Spill
	v_mad_u64_u32 v[18:19], s[0:1], v24, s2, v[18:19]
	v_add_u32_e32 v19, v15, v19
	v_cndmask_b32_e64 v20, 56, 0, vcc
	v_lshl_add_u64 v[20:21], v[18:19], 0, v[20:21]
	global_load_dwordx2 v[22:23], v[20:21], off
	global_load_dwordx2 v[24:25], v[20:21], off offset:64
	s_waitcnt vmcnt(14)
	v_ashrrev_i32_e32 v17, 31, v16
	v_lshl_add_u64 v[16:17], v[16:17], 3, v[18:19]
	global_load_dwordx2 v[26:27], v[16:17], off
	global_load_dwordx2 v[28:29], v[16:17], off offset:64
	s_waitcnt vmcnt(15)
	v_ashrrev_i32_e32 v15, 31, v14
	v_lshl_add_u64 v[14:15], v[14:15], 3, v[18:19]
	global_load_dwordx2 v[30:31], v[14:15], off
	global_load_dwordx2 v[32:33], v[14:15], off offset:64
	global_load_dwordx2 v[34:35], v[20:21], off offset:128
	;; [unrolled: 1-line block ×4, first 2 shown]
	v_mov_b32_e32 v14, 0xe48e0530
	v_mov_b32_e32 v15, 0x2b2bff2e
	s_waitcnt vmcnt(18)
	v_add_f64 v[64:65], v[52:53], -v[56:57]
	s_waitcnt vmcnt(17)
	v_add_f64 v[58:59], v[48:49], -v[54:55]
	;; [unrolled: 2-line block ×3, first 2 shown]
	v_mul_f64 v[16:17], v[68:69], v[58:59]
	s_waitcnt vmcnt(11)
	v_add_f64 v[66:67], v[10:11], -v[54:55]
	s_waitcnt vmcnt(10)
	v_add_f64 v[60:61], v[12:13], -v[50:51]
	v_add_f64 v[48:49], v[6:7], -v[50:51]
	;; [unrolled: 1-line block ×3, first 2 shown]
	v_mul_f64 v[0:1], v[68:69], v[66:67]
	v_mul_f64 v[6:7], v[60:61], v[16:17]
	v_add_f64 v[62:63], v[2:3], -v[54:55]
	v_add_f64 v[52:53], v[4:5], -v[50:51]
	v_mul_f64 v[8:9], v[70:71], v[58:59]
	v_fma_f64 v[6:7], v[0:1], v[48:49], -v[6:7]
	v_mul_f64 v[4:5], v[62:63], v[70:71]
	v_fmac_f64_e32 v[6:7], v[52:53], v[8:9]
	v_mul_f64 v[2:3], v[62:63], v[64:65]
	v_fma_f64 v[6:7], -v[4:5], v[48:49], v[6:7]
	v_mul_f64 v[20:21], v[66:67], v[64:65]
	v_fmac_f64_e32 v[6:7], v[60:61], v[2:3]
	v_fma_f64 v[12:13], -v[52:53], v[20:21], v[6:7]
	v_fmac_f64_e32 v[14:15], v[12:13], v[12:13]
	v_div_scale_f64 v[2:3], s[0:1], v[14:15], v[14:15], v[12:13]
	v_rcp_f64_e32 v[6:7], v[2:3]
	s_movk_i32 s0, 0x127c
	s_waitcnt vmcnt(7)
	v_add_f64 v[18:19], v[24:25], -v[54:55]
	v_fma_f64 v[16:17], v[62:63], v[64:65], -v[16:17]
	v_fma_f64 v[8:9], -v[2:3], v[6:7], 1.0
	v_fmac_f64_e32 v[6:7], v[6:7], v[8:9]
	v_fma_f64 v[8:9], -v[2:3], v[6:7], 1.0
	v_fmac_f64_e32 v[6:7], v[6:7], v[8:9]
	v_div_scale_f64 v[8:9], vcc, v[12:13], v[14:15], v[12:13]
	v_mul_f64 v[10:11], v[8:9], v[6:7]
	v_fma_f64 v[2:3], -v[2:3], v[10:11], v[8:9]
	v_mov_b32_e32 v8, 7
	s_nop 0
	v_div_fmas_f64 v[2:3], v[2:3], v[6:7], v[10:11]
	v_mov_b32_e32 v6, 5
	v_mov_b32_e32 v7, 6
	v_mov_b32_e32 v9, 8
	scratch_store_dwordx4 off, v[6:9], off offset:72
	scratch_store_dwordx2 off, v[12:13], s0 ; 8-byte Folded Spill
	s_movk_i32 s0, 0x1254
	v_mul_f64 v[6:7], v[60:61], v[58:59]
	v_div_fixup_f64 v[2:3], v[2:3], v[14:15], v[12:13]
	v_fma_f64 v[40:41], v[66:67], v[48:49], -v[6:7]
	v_mul_f64 v[6:7], v[70:71], v[48:49]
	v_add_f64 v[10:11], v[22:23], -v[56:57]
	scratch_store_dwordx2 off, v[56:57], s0 ; 8-byte Folded Spill
	v_mov_b64_e32 v[12:13], v[54:55]
	s_movk_i32 s0, 0x1244
	v_fma_f64 v[42:43], v[60:61], v[64:65], -v[6:7]
	scratch_store_dwordx4 off, v[10:13], s0 ; 16-byte Folded Spill
	v_mul_f64 v[44:45], v[18:19], v[42:43]
	s_movk_i32 s0, 0x1234
	v_fmac_f64_e32 v[44:45], v[10:11], v[40:41]
	s_waitcnt vmcnt(10)
	v_add_f64 v[8:9], v[26:27], -v[56:57]
	s_waitcnt vmcnt(9)
	v_add_f64 v[14:15], v[28:29], -v[54:55]
	;; [unrolled: 2-line block ×3, first 2 shown]
	v_mul_f64 v[26:27], v[14:15], v[42:43]
	v_add_f64 v[6:7], v[30:31], -v[56:57]
	v_mul_f64 v[28:29], v[12:13], v[42:43]
	v_fma_f64 v[30:31], v[70:71], v[58:59], -v[20:21]
	v_mov_b64_e32 v[20:21], v[50:51]
	v_fmac_f64_e32 v[26:27], v[8:9], v[40:41]
	v_fmac_f64_e32 v[28:29], v[6:7], v[40:41]
	s_waitcnt vmcnt(6)
	v_add_f64 v[24:25], v[34:35], -v[50:51]
	s_waitcnt vmcnt(5)
	v_add_f64 v[22:23], v[36:37], -v[50:51]
	scratch_store_dwordx4 off, v[18:21], s0 ; 16-byte Folded Spill
	v_mul_f64 v[32:33], v[52:53], v[64:65]
	v_fmac_f64_e32 v[44:45], v[24:25], v[30:31]
	s_waitcnt vmcnt(5)
	v_add_f64 v[20:21], v[38:39], -v[50:51]
	v_fmac_f64_e32 v[26:27], v[22:23], v[30:31]
	v_fmac_f64_e32 v[28:29], v[20:21], v[30:31]
	v_mul_f64 v[30:31], v[62:63], v[48:49]
	v_fma_f64 v[32:33], v[68:69], v[48:49], -v[32:33]
	v_fma_f64 v[30:31], v[52:53], v[58:59], -v[30:31]
	v_mul_f64 v[34:35], v[18:19], v[32:33]
	v_mul_f64 v[36:37], v[14:15], v[32:33]
	;; [unrolled: 1-line block ×3, first 2 shown]
	v_fmac_f64_e32 v[34:35], v[10:11], v[30:31]
	v_fmac_f64_e32 v[36:37], v[8:9], v[30:31]
	;; [unrolled: 1-line block ×3, first 2 shown]
	s_movk_i32 s0, 0x1264
	v_fmac_f64_e32 v[34:35], v[24:25], v[16:17]
	v_fmac_f64_e32 v[36:37], v[22:23], v[16:17]
	;; [unrolled: 1-line block ×3, first 2 shown]
	v_fma_f64 v[16:17], -v[44:45], v[2:3], 1.0
	scratch_store_dwordx2 off, v[58:59], s0 ; 8-byte Folded Spill
	s_movk_i32 s0, 0x125c
	v_fma_f64 v[38:39], -v[34:35], v[2:3], v[16:17]
	v_fma_f64 v[16:17], -v[26:27], v[2:3], 1.0
	scratch_store_dwordx2 off, v[48:49], s0 ; 8-byte Folded Spill
	s_movk_i32 s0, 0x128c
	v_fma_f64 v[40:41], -v[36:37], v[2:3], v[16:17]
	v_mov_b32_e32 v16, 3
	scratch_store_dwordx2 off, v[64:65], s0 ; 8-byte Folded Spill
	scratch_store_dword off, v16, off offset:100
	v_mul_f64 v[16:17], v[44:45], v[2:3]
	s_movk_i32 s0, 0x1204
	scratch_store_dwordx2 off, v[16:17], s0 ; 8-byte Folded Spill
	v_mul_f64 v[16:17], v[26:27], v[2:3]
	s_movk_i32 s0, 0x11fc
	scratch_store_dwordx2 off, v[16:17], s0 ; 8-byte Folded Spill
	;; [unrolled: 3-line block ×5, first 2 shown]
	v_fma_f64 v[16:17], -v[28:29], v[2:3], 1.0
	v_mul_f64 v[26:27], v[32:33], v[2:3]
	s_movk_i32 s0, 0x120c
	v_mov_b32_e32 v28, 16
	v_fma_f64 v[16:17], -v[32:33], v[2:3], v[16:17]
	scratch_store_dwordx2 off, v[26:27], s0 ; 8-byte Folded Spill
	scratch_store_dwordx4 off, v[38:41], off offset:16
	scratch_store_dwordx2 off, v[16:17], off offset:32
	scratch_store_dwordx4 off, v[154:157], off offset:56
	scratch_store_dword off, v156, off offset:88
	v_add_u32_e32 v34, 40, v28
	s_movk_i32 s0, 0x1224
	v_mov_b32_e32 v29, v47
	v_mov_b32_e32 v157, v156
	v_mov_b64_e32 v[26:27], v[38:39]
	scratch_store_dwordx2 off, v[46:47], s0 ; 8-byte Folded Spill
.LBB0_2:                                ; =>This Inner Loop Header: Depth=1
	v_lshl_add_u32 v30, v29, 2, v34
	scratch_load_dword v32, v30, off
	v_cmp_le_f64_e32 vcc, 0, v[26:27]
	v_cmp_gt_f64_e64 s[0:1], 0, v[26:27]
	s_waitcnt vmcnt(0)
	v_max_i32_e32 v33, 0, v32
	v_lshl_add_u32 v30, v33, 3, v28
	scratch_load_dwordx2 v[30:31], v30, off
	v_cmp_gt_i32_e64 s[2:3], 0, v32
	s_waitcnt vmcnt(0)
	v_cmp_gt_f64_e64 s[4:5], 0, v[30:31]
	v_cmp_le_f64_e64 s[6:7], 0, v[30:31]
	s_and_b64 vcc, vcc, s[4:5]
	s_and_b64 s[4:5], s[0:1], s[6:7]
	s_or_b64 s[8:9], s[2:3], s[8:9]
	s_andn2_b64 s[2:3], s[36:37], exec
	s_and_b64 s[0:1], s[0:1], exec
	v_mov_b64_e32 v[26:27], v[30:31]
	v_cndmask_b32_e32 v167, v167, v33, vcc
	v_cndmask_b32_e64 v157, v157, v33, s[4:5]
	v_cndmask_b32_e32 v156, v156, v29, vcc
	v_cndmask_b32_e64 v166, v166, v29, s[4:5]
	v_mov_b32_e32 v29, v32
	s_or_b64 s[36:37], s[2:3], s[0:1]
	s_andn2_b64 exec, exec, s[8:9]
	s_cbranch_execnz .LBB0_2
; %bb.3:
	s_or_b64 exec, exec, s[8:9]
	s_movk_i32 s0, 0x1294
	v_mul_f64 v[28:29], v[68:69], v[60:61]
	scratch_store_dwordx2 off, v[66:67], s0 ; 8-byte Folded Spill
	v_mul_f64 v[26:27], v[52:53], v[66:67]
	s_movk_i32 s0, 0x1284
	v_fma_f64 v[28:29], v[52:53], v[70:71], -v[28:29]
	scratch_store_dwordx2 off, v[62:63], s0 ; 8-byte Folded Spill
	v_fma_f64 v[26:27], v[62:63], v[60:61], -v[26:27]
	s_movk_i32 s0, 0x1274
	v_add_f64 v[0:1], v[0:1], -v[4:5]
	v_mul_f64 v[4:5], v[18:19], v[28:29]
	scratch_store_dwordx2 off, v[60:61], s0 ; 8-byte Folded Spill
	s_movk_i32 s0, 0x129c
	v_fmac_f64_e32 v[4:5], v[10:11], v[26:27]
	v_mul_f64 v[10:11], v[14:15], v[28:29]
	scratch_store_dwordx2 off, v[68:69], s0 ; 8-byte Folded Spill
	s_movk_i32 s0, 0x126c
	v_fmac_f64_e32 v[10:11], v[8:9], v[26:27]
	;; [unrolled: 4-line block ×3, first 2 shown]
	scratch_store_dwordx2 off, v[70:71], s0 ; 8-byte Folded Spill
	v_fmac_f64_e32 v[4:5], v[24:25], v[0:1]
	v_fmac_f64_e32 v[10:11], v[22:23], v[0:1]
	;; [unrolled: 1-line block ×3, first 2 shown]
	s_movk_i32 s0, 0x12b4
	v_mov_b32_e32 v0, -1
	s_movk_i32 s2, 0x12ac
	v_mul_f64 v[160:161], v[4:5], v[2:3]
	v_mul_f64 v[154:155], v[10:11], v[2:3]
	;; [unrolled: 1-line block ×3, first 2 shown]
	v_fma_f64 v[158:159], -v[4:5], v[2:3], v[38:39]
	scratch_store_dwordx4 off, v[38:41], s0 ; 16-byte Folded Spill
	v_fma_f64 v[164:165], -v[10:11], v[2:3], v[40:41]
	v_fma_f64 v[162:163], -v[8:9], v[2:3], v[16:17]
	v_cmp_lt_i32_e64 s[0:1], -1, v156
	scratch_store_dword off, v0, s2         ; 4-byte Folded Spill
	v_mov_b32_e32 v0, -1
	s_movk_i32 s2, 0x12b0
	scratch_store_dword off, v34, off offset:112 ; 4-byte Folded Spill
	scratch_store_dword off, v0, s2         ; 4-byte Folded Spill
	s_mov_b64 s[38:39], exec
                                        ; implicit-def: $vgpr0_vgpr1_vgpr2_vgpr3_vgpr4_vgpr5_vgpr6_vgpr7_vgpr8_vgpr9_vgpr10_vgpr11_vgpr12_vgpr13_vgpr14_vgpr15_vgpr16_vgpr17_vgpr18_vgpr19_vgpr20_vgpr21_vgpr22_vgpr23_vgpr24_vgpr25_vgpr26_vgpr27_vgpr28_vgpr29_vgpr30_vgpr31
                                        ; kill: killed $vgpr0_vgpr1_vgpr2_vgpr3_vgpr4_vgpr5_vgpr6_vgpr7_vgpr8_vgpr9_vgpr10_vgpr11_vgpr12_vgpr13_vgpr14_vgpr15_vgpr16_vgpr17_vgpr18_vgpr19_vgpr20_vgpr21_vgpr22_vgpr23_vgpr24_vgpr25_vgpr26_vgpr27_vgpr28_vgpr29_vgpr30_vgpr31
                                        ; implicit-def: $vgpr70_vgpr71_vgpr72_vgpr73_vgpr74_vgpr75_vgpr76_vgpr77_vgpr78_vgpr79_vgpr80_vgpr81_vgpr82_vgpr83_vgpr84_vgpr85_vgpr86_vgpr87_vgpr88_vgpr89_vgpr90_vgpr91_vgpr92_vgpr93_vgpr94_vgpr95_vgpr96_vgpr97_vgpr98_vgpr99_vgpr100_vgpr101
	s_and_b64 s[2:3], s[38:39], s[0:1]
                                        ; implicit-def: $vgpr0_vgpr1_vgpr2_vgpr3_vgpr4_vgpr5_vgpr6_vgpr7_vgpr8_vgpr9_vgpr10_vgpr11_vgpr12_vgpr13_vgpr14_vgpr15_vgpr16_vgpr17_vgpr18_vgpr19_vgpr20_vgpr21_vgpr22_vgpr23_vgpr24_vgpr25_vgpr26_vgpr27_vgpr28_vgpr29_vgpr30_vgpr31
                                        ; kill: killed $vgpr0_vgpr1_vgpr2_vgpr3_vgpr4_vgpr5_vgpr6_vgpr7_vgpr8_vgpr9_vgpr10_vgpr11_vgpr12_vgpr13_vgpr14_vgpr15_vgpr16_vgpr17_vgpr18_vgpr19_vgpr20_vgpr21_vgpr22_vgpr23_vgpr24_vgpr25_vgpr26_vgpr27_vgpr28_vgpr29_vgpr30_vgpr31
                                        ; implicit-def: $vgpr40_vgpr41_vgpr42_vgpr43_vgpr44_vgpr45_vgpr46_vgpr47_vgpr48_vgpr49_vgpr50_vgpr51_vgpr52_vgpr53_vgpr54_vgpr55_vgpr56_vgpr57_vgpr58_vgpr59_vgpr60_vgpr61_vgpr62_vgpr63_vgpr64_vgpr65_vgpr66_vgpr67_vgpr68_vgpr69_vgpr70_vgpr71
                                        ; kill: killed $vgpr40_vgpr41_vgpr42_vgpr43_vgpr44_vgpr45_vgpr46_vgpr47_vgpr48_vgpr49_vgpr50_vgpr51_vgpr52_vgpr53_vgpr54_vgpr55_vgpr56_vgpr57_vgpr58_vgpr59_vgpr60_vgpr61_vgpr62_vgpr63_vgpr64_vgpr65_vgpr66_vgpr67_vgpr68_vgpr69_vgpr70_vgpr71
                                        ; implicit-def: $vgpr112_vgpr113_vgpr114_vgpr115_vgpr116_vgpr117_vgpr118_vgpr119_vgpr120_vgpr121_vgpr122_vgpr123_vgpr124_vgpr125_vgpr126_vgpr127_vgpr128_vgpr129_vgpr130_vgpr131_vgpr132_vgpr133_vgpr134_vgpr135_vgpr136_vgpr137_vgpr138_vgpr139_vgpr140_vgpr141_vgpr142_vgpr143
                                        ; implicit-def: $vgpr122_vgpr123_vgpr124_vgpr125_vgpr126_vgpr127_vgpr128_vgpr129_vgpr130_vgpr131_vgpr132_vgpr133_vgpr134_vgpr135_vgpr136_vgpr137_vgpr138_vgpr139_vgpr140_vgpr141_vgpr142_vgpr143_vgpr144_vgpr145_vgpr146_vgpr147_vgpr148_vgpr149_vgpr150_vgpr151_vgpr152_vgpr153
                                        ; implicit-def: $vgpr0_vgpr1_vgpr2_vgpr3_vgpr4_vgpr5_vgpr6_vgpr7_vgpr8_vgpr9_vgpr10_vgpr11_vgpr12_vgpr13_vgpr14_vgpr15_vgpr16_vgpr17_vgpr18_vgpr19_vgpr20_vgpr21_vgpr22_vgpr23_vgpr24_vgpr25_vgpr26_vgpr27_vgpr28_vgpr29_vgpr30_vgpr31
                                        ; kill: killed $vgpr0_vgpr1_vgpr2_vgpr3_vgpr4_vgpr5_vgpr6_vgpr7_vgpr8_vgpr9_vgpr10_vgpr11_vgpr12_vgpr13_vgpr14_vgpr15_vgpr16_vgpr17_vgpr18_vgpr19_vgpr20_vgpr21_vgpr22_vgpr23_vgpr24_vgpr25_vgpr26_vgpr27_vgpr28_vgpr29_vgpr30_vgpr31
                                        ; implicit-def: $vgpr78_vgpr79_vgpr80_vgpr81_vgpr82_vgpr83_vgpr84_vgpr85_vgpr86_vgpr87_vgpr88_vgpr89_vgpr90_vgpr91_vgpr92_vgpr93_vgpr94_vgpr95_vgpr96_vgpr97_vgpr98_vgpr99_vgpr100_vgpr101_vgpr102_vgpr103_vgpr104_vgpr105_vgpr106_vgpr107_vgpr108_vgpr109
                                        ; implicit-def: $vgpr0_vgpr1_vgpr2_vgpr3_vgpr4_vgpr5_vgpr6_vgpr7_vgpr8_vgpr9_vgpr10_vgpr11_vgpr12_vgpr13_vgpr14_vgpr15_vgpr16_vgpr17_vgpr18_vgpr19_vgpr20_vgpr21_vgpr22_vgpr23_vgpr24_vgpr25_vgpr26_vgpr27_vgpr28_vgpr29_vgpr30_vgpr31
                                        ; kill: killed $vgpr0_vgpr1_vgpr2_vgpr3_vgpr4_vgpr5_vgpr6_vgpr7_vgpr8_vgpr9_vgpr10_vgpr11_vgpr12_vgpr13_vgpr14_vgpr15_vgpr16_vgpr17_vgpr18_vgpr19_vgpr20_vgpr21_vgpr22_vgpr23_vgpr24_vgpr25_vgpr26_vgpr27_vgpr28_vgpr29_vgpr30_vgpr31
                                        ; implicit-def: $vgpr0_vgpr1_vgpr2_vgpr3_vgpr4_vgpr5_vgpr6_vgpr7_vgpr8_vgpr9_vgpr10_vgpr11_vgpr12_vgpr13_vgpr14_vgpr15_vgpr16_vgpr17_vgpr18_vgpr19_vgpr20_vgpr21_vgpr22_vgpr23_vgpr24_vgpr25_vgpr26_vgpr27_vgpr28_vgpr29_vgpr30_vgpr31
                                        ; kill: killed $vgpr0_vgpr1_vgpr2_vgpr3_vgpr4_vgpr5_vgpr6_vgpr7_vgpr8_vgpr9_vgpr10_vgpr11_vgpr12_vgpr13_vgpr14_vgpr15_vgpr16_vgpr17_vgpr18_vgpr19_vgpr20_vgpr21_vgpr22_vgpr23_vgpr24_vgpr25_vgpr26_vgpr27_vgpr28_vgpr29_vgpr30_vgpr31
	;; [unrolled: 2-line block ×5, first 2 shown]
                                        ; implicit-def: $vgpr2_vgpr3_vgpr4_vgpr5_vgpr6_vgpr7_vgpr8_vgpr9_vgpr10_vgpr11_vgpr12_vgpr13_vgpr14_vgpr15_vgpr16_vgpr17_vgpr18_vgpr19_vgpr20_vgpr21_vgpr22_vgpr23_vgpr24_vgpr25_vgpr26_vgpr27_vgpr28_vgpr29_vgpr30_vgpr31_vgpr32_vgpr33
                                        ; kill: killed $vgpr2_vgpr3_vgpr4_vgpr5_vgpr6_vgpr7_vgpr8_vgpr9_vgpr10_vgpr11_vgpr12_vgpr13_vgpr14_vgpr15_vgpr16_vgpr17_vgpr18_vgpr19_vgpr20_vgpr21_vgpr22_vgpr23_vgpr24_vgpr25_vgpr26_vgpr27_vgpr28_vgpr29_vgpr30_vgpr31_vgpr32_vgpr33
                                        ; implicit-def: $vgpr14_vgpr15_vgpr16_vgpr17_vgpr18_vgpr19_vgpr20_vgpr21_vgpr22_vgpr23_vgpr24_vgpr25_vgpr26_vgpr27_vgpr28_vgpr29_vgpr30_vgpr31_vgpr32_vgpr33_vgpr34_vgpr35_vgpr36_vgpr37_vgpr38_vgpr39_vgpr40_vgpr41_vgpr42_vgpr43_vgpr44_vgpr45
                                        ; kill: killed $vgpr14_vgpr15_vgpr16_vgpr17_vgpr18_vgpr19_vgpr20_vgpr21_vgpr22_vgpr23_vgpr24_vgpr25_vgpr26_vgpr27_vgpr28_vgpr29_vgpr30_vgpr31_vgpr32_vgpr33_vgpr34_vgpr35_vgpr36_vgpr37_vgpr38_vgpr39_vgpr40_vgpr41_vgpr42_vgpr43_vgpr44_vgpr45
                                        ; implicit-def: $vgpr0_vgpr1_vgpr2_vgpr3_vgpr4_vgpr5_vgpr6_vgpr7_vgpr8_vgpr9_vgpr10_vgpr11_vgpr12_vgpr13_vgpr14_vgpr15_vgpr16_vgpr17_vgpr18_vgpr19_vgpr20_vgpr21_vgpr22_vgpr23_vgpr24_vgpr25_vgpr26_vgpr27_vgpr28_vgpr29_vgpr30_vgpr31
                                        ; kill: killed $vgpr0_vgpr1_vgpr2_vgpr3_vgpr4_vgpr5_vgpr6_vgpr7_vgpr8_vgpr9_vgpr10_vgpr11_vgpr12_vgpr13_vgpr14_vgpr15_vgpr16_vgpr17_vgpr18_vgpr19_vgpr20_vgpr21_vgpr22_vgpr23_vgpr24_vgpr25_vgpr26_vgpr27_vgpr28_vgpr29_vgpr30_vgpr31
                                        ; implicit-def: $vgpr44_vgpr45_vgpr46_vgpr47_vgpr48_vgpr49_vgpr50_vgpr51_vgpr52_vgpr53_vgpr54_vgpr55_vgpr56_vgpr57_vgpr58_vgpr59_vgpr60_vgpr61_vgpr62_vgpr63_vgpr64_vgpr65_vgpr66_vgpr67_vgpr68_vgpr69_vgpr70_vgpr71_vgpr72_vgpr73_vgpr74_vgpr75
                                        ; kill: killed $vgpr44_vgpr45_vgpr46_vgpr47_vgpr48_vgpr49_vgpr50_vgpr51_vgpr52_vgpr53_vgpr54_vgpr55_vgpr56_vgpr57_vgpr58_vgpr59_vgpr60_vgpr61_vgpr62_vgpr63_vgpr64_vgpr65_vgpr66_vgpr67_vgpr68_vgpr69_vgpr70_vgpr71_vgpr72_vgpr73_vgpr74_vgpr75
                                        ; implicit-def: $vgpr2_vgpr3_vgpr4_vgpr5_vgpr6_vgpr7_vgpr8_vgpr9_vgpr10_vgpr11_vgpr12_vgpr13_vgpr14_vgpr15_vgpr16_vgpr17_vgpr18_vgpr19_vgpr20_vgpr21_vgpr22_vgpr23_vgpr24_vgpr25_vgpr26_vgpr27_vgpr28_vgpr29_vgpr30_vgpr31_vgpr32_vgpr33
                                        ; kill: killed $vgpr2_vgpr3_vgpr4_vgpr5_vgpr6_vgpr7_vgpr8_vgpr9_vgpr10_vgpr11_vgpr12_vgpr13_vgpr14_vgpr15_vgpr16_vgpr17_vgpr18_vgpr19_vgpr20_vgpr21_vgpr22_vgpr23_vgpr24_vgpr25_vgpr26_vgpr27_vgpr28_vgpr29_vgpr30_vgpr31_vgpr32_vgpr33
                                        ; implicit-def: $vgpr44_vgpr45_vgpr46_vgpr47_vgpr48_vgpr49_vgpr50_vgpr51_vgpr52_vgpr53_vgpr54_vgpr55_vgpr56_vgpr57_vgpr58_vgpr59_vgpr60_vgpr61_vgpr62_vgpr63_vgpr64_vgpr65_vgpr66_vgpr67_vgpr68_vgpr69_vgpr70_vgpr71_vgpr72_vgpr73_vgpr74_vgpr75
                                        ; kill: killed $vgpr44_vgpr45_vgpr46_vgpr47_vgpr48_vgpr49_vgpr50_vgpr51_vgpr52_vgpr53_vgpr54_vgpr55_vgpr56_vgpr57_vgpr58_vgpr59_vgpr60_vgpr61_vgpr62_vgpr63_vgpr64_vgpr65_vgpr66_vgpr67_vgpr68_vgpr69_vgpr70_vgpr71_vgpr72_vgpr73_vgpr74_vgpr75
                                        ; implicit-def: $vgpr0_vgpr1_vgpr2_vgpr3_vgpr4_vgpr5_vgpr6_vgpr7_vgpr8_vgpr9_vgpr10_vgpr11_vgpr12_vgpr13_vgpr14_vgpr15_vgpr16_vgpr17_vgpr18_vgpr19_vgpr20_vgpr21_vgpr22_vgpr23_vgpr24_vgpr25_vgpr26_vgpr27_vgpr28_vgpr29_vgpr30_vgpr31
                                        ; kill: killed $vgpr0_vgpr1_vgpr2_vgpr3_vgpr4_vgpr5_vgpr6_vgpr7_vgpr8_vgpr9_vgpr10_vgpr11_vgpr12_vgpr13_vgpr14_vgpr15_vgpr16_vgpr17_vgpr18_vgpr19_vgpr20_vgpr21_vgpr22_vgpr23_vgpr24_vgpr25_vgpr26_vgpr27_vgpr28_vgpr29_vgpr30_vgpr31
                                        ; implicit-def: $vgpr44_vgpr45_vgpr46_vgpr47_vgpr48_vgpr49_vgpr50_vgpr51_vgpr52_vgpr53_vgpr54_vgpr55_vgpr56_vgpr57_vgpr58_vgpr59_vgpr60_vgpr61_vgpr62_vgpr63_vgpr64_vgpr65_vgpr66_vgpr67_vgpr68_vgpr69_vgpr70_vgpr71_vgpr72_vgpr73_vgpr74_vgpr75
                                        ; implicit-def: $vgpr2_vgpr3_vgpr4_vgpr5_vgpr6_vgpr7_vgpr8_vgpr9_vgpr10_vgpr11_vgpr12_vgpr13_vgpr14_vgpr15_vgpr16_vgpr17_vgpr18_vgpr19_vgpr20_vgpr21_vgpr22_vgpr23_vgpr24_vgpr25_vgpr26_vgpr27_vgpr28_vgpr29_vgpr30_vgpr31_vgpr32_vgpr33
                                        ; kill: killed $vgpr2_vgpr3_vgpr4_vgpr5_vgpr6_vgpr7_vgpr8_vgpr9_vgpr10_vgpr11_vgpr12_vgpr13_vgpr14_vgpr15_vgpr16_vgpr17_vgpr18_vgpr19_vgpr20_vgpr21_vgpr22_vgpr23_vgpr24_vgpr25_vgpr26_vgpr27_vgpr28_vgpr29_vgpr30_vgpr31_vgpr32_vgpr33
                                        ; implicit-def: $vgpr0_vgpr1_vgpr2_vgpr3_vgpr4_vgpr5_vgpr6_vgpr7_vgpr8_vgpr9_vgpr10_vgpr11_vgpr12_vgpr13_vgpr14_vgpr15_vgpr16_vgpr17_vgpr18_vgpr19_vgpr20_vgpr21_vgpr22_vgpr23_vgpr24_vgpr25_vgpr26_vgpr27_vgpr28_vgpr29_vgpr30_vgpr31
                                        ; kill: killed $vgpr0_vgpr1_vgpr2_vgpr3_vgpr4_vgpr5_vgpr6_vgpr7_vgpr8_vgpr9_vgpr10_vgpr11_vgpr12_vgpr13_vgpr14_vgpr15_vgpr16_vgpr17_vgpr18_vgpr19_vgpr20_vgpr21_vgpr22_vgpr23_vgpr24_vgpr25_vgpr26_vgpr27_vgpr28_vgpr29_vgpr30_vgpr31
                                        ; implicit-def: $vgpr0_vgpr1_vgpr2_vgpr3_vgpr4_vgpr5_vgpr6_vgpr7_vgpr8_vgpr9_vgpr10_vgpr11_vgpr12_vgpr13_vgpr14_vgpr15_vgpr16_vgpr17_vgpr18_vgpr19_vgpr20_vgpr21_vgpr22_vgpr23_vgpr24_vgpr25_vgpr26_vgpr27_vgpr28_vgpr29_vgpr30_vgpr31
                                        ; kill: killed $vgpr0_vgpr1_vgpr2_vgpr3_vgpr4_vgpr5_vgpr6_vgpr7_vgpr8_vgpr9_vgpr10_vgpr11_vgpr12_vgpr13_vgpr14_vgpr15_vgpr16_vgpr17_vgpr18_vgpr19_vgpr20_vgpr21_vgpr22_vgpr23_vgpr24_vgpr25_vgpr26_vgpr27_vgpr28_vgpr29_vgpr30_vgpr31
	;; [unrolled: 2-line block ×18, first 2 shown]
	s_mov_b64 exec, s[2:3]
	s_cbranch_execz .LBB0_5
; %bb.4:
	v_mov_b32_e32 v6, 16
	v_lshl_add_u32 v7, v167, 3, v6
	s_movk_i32 s4, 0x11fc
	v_lshl_add_u32 v8, v156, 3, v6
	scratch_load_dwordx2 v[2:3], v7, off
	scratch_load_dwordx2 v[4:5], v8, off
	scratch_load_dwordx2 v[28:29], off, s4  ; 8-byte Folded Reload
	s_movk_i32 s4, 0x1204
	scratch_load_dwordx2 v[30:31], off, s4  ; 8-byte Folded Reload
	s_movk_i32 s6, 0x11f4
	;; [unrolled: 2-line block ×3, first 2 shown]
	scratch_load_dwordx2 v[36:37], off, s10 ; 8-byte Folded Reload
	s_movk_i32 s10, 0x121c
	scratch_load_dwordx2 v[34:35], off, s10 ; 8-byte Folded Reload
	s_movk_i32 s12, 0x120c
	scratch_load_dwordx2 v[32:33], off, s12 ; 8-byte Folded Reload
	v_cmp_eq_u32_e64 s[2:3], 1, v156
	v_cmp_eq_u32_e64 s[4:5], 1, v167
	;; [unrolled: 1-line block ×4, first 2 shown]
	v_lshl_add_u32 v14, v166, 3, v6
	v_cmp_eq_u32_e64 s[14:15], 3, v156
	v_cmp_eq_u32_e64 s[10:11], 3, v167
	v_lshl_add_u32 v15, v157, 3, v6
	v_cmp_eq_u32_e64 s[18:19], 4, v156
	v_cmp_eq_u32_e64 s[12:13], 4, v167
	;; [unrolled: 1-line block ×10, first 2 shown]
	s_movk_i32 s33, 0x1074
	s_waitcnt vmcnt(4)
	v_cndmask_b32_e64 v7, v31, v29, s[2:3]
	v_cndmask_b32_e64 v8, v31, v29, s[4:5]
	s_waitcnt vmcnt(3)
	v_cndmask_b32_e64 v7, v7, v27, s[8:9]
	v_cndmask_b32_e64 v9, v30, v28, s[2:3]
	v_cndmask_b32_e64 v8, v8, v27, s[6:7]
	v_cndmask_b32_e64 v16, v7, v0, s[14:15]
	v_cndmask_b32_e64 v17, v9, v26, s[8:9]
	v_cndmask_b32_e64 v18, v8, v0, s[10:11]
	scratch_load_dwordx2 v[6:7], v14, off
	scratch_load_dwordx2 v[8:9], v15, off
	v_cndmask_b32_e64 v10, v30, v28, s[4:5]
	s_waitcnt vmcnt(3)
	v_cndmask_b32_e64 v11, v35, v37, s[2:3]
	v_cndmask_b32_e64 v12, v34, v36, s[2:3]
	;; [unrolled: 1-line block ×4, first 2 shown]
	s_waitcnt vmcnt(2)
	v_cndmask_b32_e64 v11, v11, v33, s[8:9]
	v_cndmask_b32_e64 v12, v12, v32, s[8:9]
	;; [unrolled: 1-line block ×39, first 2 shown]
	v_add_f64 v[16:17], -v[2:3], 0
	v_add_f64 v[2:3], v[4:5], -v[2:3]
	v_div_scale_f64 v[4:5], s[40:41], v[2:3], v[2:3], v[16:17]
	v_cndmask_b32_e64 v24, v18, v0, s[24:25]
	v_rcp_f64_e32 v[18:19], v[4:5]
	v_cndmask_b32_e64 v10, v14, v0, s[34:35]
	v_cndmask_b32_e64 v14, v20, v0, s[34:35]
	v_div_scale_f64 v[20:21], vcc, v[16:17], v[2:3], v[16:17]
	v_fma_f64 v[22:23], -v[4:5], v[18:19], 1.0
	v_fmac_f64_e32 v[18:19], v[18:19], v[22:23]
	v_fma_f64 v[22:23], -v[4:5], v[18:19], 1.0
	v_fmac_f64_e32 v[18:19], v[18:19], v[22:23]
	v_mul_f64 v[22:23], v[20:21], v[18:19]
	v_fma_f64 v[4:5], -v[4:5], v[22:23], v[20:21]
	v_div_fmas_f64 v[4:5], v[4:5], v[18:19], v[22:23]
	v_div_fixup_f64 v[2:3], v[4:5], v[2:3], v[16:17]
	v_add_f64 v[4:5], -v[2:3], 1.0
	v_mul_f64 v[16:17], v[12:13], v[4:5]
	v_fmac_f64_e32 v[16:17], v[10:11], v[2:3]
	v_cndmask_b32_e64 v10, v34, v36, s[4:5]
	v_cndmask_b32_e64 v10, v10, v32, s[6:7]
	;; [unrolled: 1-line block ×10, first 2 shown]
	v_mul_f64 v[18:19], v[10:11], v[4:5]
	v_cndmask_b32_e64 v10, v161, v155, s[2:3]
	v_cndmask_b32_e64 v12, v12, v111, s[6:7]
	;; [unrolled: 1-line block ×31, first 2 shown]
	v_mul_f64 v[128:129], v[12:13], v[4:5]
	v_cndmask_b32_e64 v12, v159, v165, s[4:5]
	v_fmac_f64_e32 v[128:129], v[10:11], v[2:3]
	v_cndmask_b32_e64 v10, v159, v165, s[2:3]
	v_cndmask_b32_e64 v12, v12, v163, s[6:7]
	v_cndmask_b32_e64 v10, v10, v163, s[8:9]
	v_cndmask_b32_e64 v12, v12, v0, s[10:11]
	v_cndmask_b32_e64 v10, v10, v0, s[14:15]
	v_cndmask_b32_e64 v12, v12, v0, s[12:13]
	v_cndmask_b32_e64 v10, v10, v0, s[18:19]
	v_cndmask_b32_e64 v12, v12, v0, s[16:17]
	v_cndmask_b32_e64 v10, v10, v0, s[22:23]
	v_cndmask_b32_e64 v12, v12, v0, s[20:21]
	v_cndmask_b32_e64 v10, v10, v0, s[26:27]
	v_cndmask_b32_e64 v12, v12, v0, s[24:25]
	v_cndmask_b32_e64 v10, v10, v0, s[30:31]
	v_cndmask_b32_e64 v13, v12, v0, s[28:29]
	v_cndmask_b32_e64 v12, v158, v164, s[4:5]
	v_cndmask_b32_e64 v11, v10, v0, s[34:35]
	v_cndmask_b32_e64 v10, v158, v164, s[2:3]
	v_cndmask_b32_e64 v12, v12, v162, s[6:7]
	v_cndmask_b32_e64 v10, v10, v162, s[8:9]
	v_cndmask_b32_e64 v12, v12, v0, s[10:11]
	v_cndmask_b32_e64 v10, v10, v0, s[14:15]
	v_cndmask_b32_e64 v12, v12, v0, s[12:13]
	v_cndmask_b32_e64 v10, v10, v0, s[18:19]
	v_cndmask_b32_e64 v12, v12, v0, s[16:17]
	v_cndmask_b32_e64 v10, v10, v0, s[22:23]
	v_cndmask_b32_e64 v12, v12, v0, s[20:21]
	v_cndmask_b32_e64 v10, v10, v0, s[26:27]
	v_cndmask_b32_e64 v12, v12, v0, s[24:25]
	v_cndmask_b32_e64 v10, v10, v0, s[30:31]
	v_cndmask_b32_e64 v12, v12, v0, s[28:29]
	v_fmac_f64_e32 v[18:19], v[14:15], v[2:3]
	v_cndmask_b32_e64 v10, v10, v0, s[34:35]
	v_mul_f64 v[14:15], v[12:13], v[4:5]
	v_fmac_f64_e32 v[14:15], v[10:11], v[2:3]
	s_waitcnt vmcnt(1)
	v_add_f64 v[2:3], -v[6:7], 0
	s_waitcnt vmcnt(0)
	v_add_f64 v[4:5], v[8:9], -v[6:7]
	v_div_scale_f64 v[6:7], s[2:3], v[4:5], v[4:5], v[2:3]
	v_rcp_f64_e32 v[8:9], v[6:7]
	v_cmp_eq_u32_e64 s[2:3], 2, v157
	v_cmp_eq_u32_e64 s[4:5], 3, v157
	;; [unrolled: 1-line block ×3, first 2 shown]
	v_fma_f64 v[10:11], -v[6:7], v[8:9], 1.0
	v_fmac_f64_e32 v[8:9], v[8:9], v[10:11]
	v_fma_f64 v[10:11], -v[6:7], v[8:9], 1.0
	v_fmac_f64_e32 v[8:9], v[8:9], v[10:11]
	v_div_scale_f64 v[10:11], vcc, v[2:3], v[4:5], v[2:3]
	v_mul_f64 v[12:13], v[10:11], v[8:9]
	v_fma_f64 v[6:7], -v[6:7], v[12:13], v[10:11]
	v_cmp_eq_u32_e64 s[8:9], 5, v157
	s_nop 0
	v_div_fmas_f64 v[6:7], v[6:7], v[8:9], v[12:13]
	v_cmp_eq_u32_e32 vcc, 1, v157
	v_div_fixup_f64 v[2:3], v[6:7], v[4:5], v[2:3]
	v_cmp_eq_u32_e64 s[10:11], 6, v157
	v_cndmask_b32_e32 v4, v31, v29, vcc
	v_cndmask_b32_e64 v4, v4, v27, s[2:3]
	v_cndmask_b32_e64 v4, v4, v17, s[4:5]
	;; [unrolled: 1-line block ×5, first 2 shown]
	v_cmp_eq_u32_e64 s[12:13], 7, v157
	v_cmp_eq_u32_e64 s[16:17], 1, v166
	;; [unrolled: 1-line block ×3, first 2 shown]
	v_cndmask_b32_e64 v4, v4, v0, s[12:13]
	v_cndmask_b32_e64 v6, v31, v29, s[16:17]
	v_cmp_eq_u32_e64 s[18:19], 2, v166
	v_cndmask_b32_e64 v5, v4, v0, s[14:15]
	v_cndmask_b32_e32 v4, v30, v28, vcc
	v_cndmask_b32_e64 v6, v6, v27, s[18:19]
	v_cmp_eq_u32_e64 s[20:21], 3, v166
	v_cndmask_b32_e64 v4, v4, v26, s[2:3]
	v_cmp_eq_u32_e64 s[22:23], 4, v166
	v_cndmask_b32_e64 v6, v6, v17, s[20:21]
	v_cndmask_b32_e64 v4, v4, v16, s[4:5]
	v_cndmask_b32_e64 v6, v6, v0, s[22:23]
	v_cmp_eq_u32_e64 s[24:25], 5, v166
	v_cndmask_b32_e64 v4, v4, v0, s[6:7]
	v_cmp_eq_u32_e64 s[26:27], 6, v166
	v_cndmask_b32_e64 v6, v6, v0, s[24:25]
	v_cndmask_b32_e64 v4, v4, v0, s[8:9]
	;; [unrolled: 6-line block ×3, first 2 shown]
	v_cndmask_b32_e64 v7, v6, v0, s[30:31]
	v_cndmask_b32_e64 v6, v30, v28, s[16:17]
	;; [unrolled: 1-line block ×4, first 2 shown]
	v_mov_b64_e32 v[8:9], v[16:17]
	scratch_store_dwordx4 off, v[2:5], off offset:756 ; 16-byte Folded Spill
	s_nop 0
	scratch_store_dwordx4 off, v[6:9], off offset:772 ; 16-byte Folded Spill
	scratch_store_dwordx4 off, v[10:13], off offset:788 ; 16-byte Folded Spill
	;; [unrolled: 1-line block ×7, first 2 shown]
	v_cndmask_b32_e64 v6, v6, v16, s[20:21]
	v_cndmask_b32_e64 v6, v6, v0, s[22:23]
	;; [unrolled: 1-line block ×6, first 2 shown]
	v_add_f64 v[8:9], -v[2:3], 1.0
	v_mul_f64 v[52:53], v[8:9], v[6:7]
	v_fmac_f64_e32 v[52:53], v[2:3], v[4:5]
	v_cndmask_b32_e32 v4, v35, v37, vcc
	v_cndmask_b32_e32 v5, v34, v36, vcc
	v_cndmask_b32_e64 v4, v4, v33, s[2:3]
	v_cndmask_b32_e64 v5, v5, v32, s[2:3]
	v_cndmask_b32_e64 v4, v4, v19, s[4:5]
	v_cndmask_b32_e64 v5, v5, v18, s[4:5]
	v_cndmask_b32_e64 v4, v4, v0, s[6:7]
	v_cndmask_b32_e64 v5, v5, v0, s[6:7]
	v_cndmask_b32_e64 v4, v4, v0, s[8:9]
	v_cndmask_b32_e64 v5, v5, v0, s[8:9]
	v_cndmask_b32_e64 v4, v4, v0, s[10:11]
	v_cndmask_b32_e64 v5, v5, v0, s[10:11]
	v_cndmask_b32_e64 v4, v4, v0, s[12:13]
	v_cndmask_b32_e64 v6, v5, v0, s[12:13]
	v_cndmask_b32_e64 v5, v4, v0, s[14:15]
	v_cndmask_b32_e64 v4, v6, v0, s[14:15]
	v_cndmask_b32_e64 v6, v35, v37, s[16:17]
	v_cndmask_b32_e64 v6, v6, v33, s[18:19]
	v_cndmask_b32_e64 v6, v6, v19, s[20:21]
	v_cndmask_b32_e64 v6, v6, v0, s[22:23]
	v_cndmask_b32_e64 v6, v6, v0, s[24:25]
	v_cndmask_b32_e64 v6, v6, v0, s[26:27]
	v_cndmask_b32_e64 v7, v34, v36, s[16:17]
	v_cndmask_b32_e64 v6, v6, v0, s[28:29]
	v_cndmask_b32_e64 v7, v7, v32, s[18:19]
	v_mov_b64_e32 v[10:11], v[18:19]
	scratch_store_dwordx4 off, v[4:7], s33  ; 16-byte Folded Spill
	s_nop 0
	scratch_store_dwordx4 off, v[8:11], s33 offset:16 ; 16-byte Folded Spill
	scratch_store_dwordx4 off, v[12:15], s33 offset:32 ; 16-byte Folded Spill
	;; [unrolled: 1-line block ×7, first 2 shown]
	v_cndmask_b32_e64 v7, v7, v18, s[20:21]
	v_cndmask_b32_e64 v7, v7, v0, s[22:23]
	;; [unrolled: 1-line block ×7, first 2 shown]
	v_mul_f64 v[10:11], v[8:9], v[6:7]
	v_fmac_f64_e32 v[10:11], v[2:3], v[4:5]
	scratch_store_dwordx4 off, v[2:5], off offset:1396 ; 16-byte Folded Spill
	s_nop 0
	scratch_store_dwordx4 off, v[6:9], off offset:1412 ; 16-byte Folded Spill
	scratch_store_dwordx4 off, v[10:13], off offset:1428 ; 16-byte Folded Spill
	;; [unrolled: 1-line block ×7, first 2 shown]
	v_cndmask_b32_e32 v4, v161, v155, vcc
	v_cndmask_b32_e32 v5, v160, v154, vcc
	v_cndmask_b32_e64 v4, v4, v111, s[2:3]
	v_cndmask_b32_e64 v5, v5, v110, s[2:3]
	;; [unrolled: 1-line block ×30, first 2 shown]
	v_mul_f64 v[86:87], v[8:9], v[6:7]
	v_fmac_f64_e32 v[86:87], v[2:3], v[4:5]
	v_cndmask_b32_e32 v4, v159, v165, vcc
	v_cndmask_b32_e32 v5, v158, v164, vcc
	v_cndmask_b32_e64 v4, v4, v163, s[2:3]
	v_cndmask_b32_e64 v5, v5, v162, s[2:3]
	;; [unrolled: 1-line block ×30, first 2 shown]
	v_mul_f64 v[120:121], v[8:9], v[6:7]
	v_mov_b32_e32 v0, 3
	s_movk_i32 s2, 0x12ac
	v_fmac_f64_e32 v[120:121], v[2:3], v[4:5]
	v_mov_b32_e32 v2, 5
	scratch_store_dword off, v0, s2         ; 4-byte Folded Spill
	v_mov_b32_e32 v0, 4
	s_movk_i32 s2, 0x12b0
	v_mov_b64_e32 v[76:77], v[14:15]
	scratch_store_dword off, v2, off offset:100
	scratch_store_dword off, v0, s2         ; 4-byte Folded Spill
                                        ; implicit-def: $vgpr0_vgpr1_vgpr2_vgpr3_vgpr4_vgpr5_vgpr6_vgpr7_vgpr8_vgpr9_vgpr10_vgpr11_vgpr12_vgpr13_vgpr14_vgpr15_vgpr16_vgpr17_vgpr18_vgpr19_vgpr20_vgpr21_vgpr22_vgpr23_vgpr24_vgpr25_vgpr26_vgpr27_vgpr28_vgpr29_vgpr30_vgpr31
                                        ; kill: killed $vgpr0_vgpr1_vgpr2_vgpr3_vgpr4_vgpr5_vgpr6_vgpr7_vgpr8_vgpr9_vgpr10_vgpr11_vgpr12_vgpr13_vgpr14_vgpr15_vgpr16_vgpr17_vgpr18_vgpr19_vgpr20_vgpr21_vgpr22_vgpr23_vgpr24_vgpr25_vgpr26_vgpr27_vgpr28_vgpr29_vgpr30_vgpr31
                                        ; implicit-def: $vgpr0_vgpr1_vgpr2_vgpr3_vgpr4_vgpr5_vgpr6_vgpr7_vgpr8_vgpr9_vgpr10_vgpr11_vgpr12_vgpr13_vgpr14_vgpr15_vgpr16_vgpr17_vgpr18_vgpr19_vgpr20_vgpr21_vgpr22_vgpr23_vgpr24_vgpr25_vgpr26_vgpr27_vgpr28_vgpr29_vgpr30_vgpr31
                                        ; kill: killed $vgpr0_vgpr1_vgpr2_vgpr3_vgpr4_vgpr5_vgpr6_vgpr7_vgpr8_vgpr9_vgpr10_vgpr11_vgpr12_vgpr13_vgpr14_vgpr15_vgpr16_vgpr17_vgpr18_vgpr19_vgpr20_vgpr21_vgpr22_vgpr23_vgpr24_vgpr25_vgpr26_vgpr27_vgpr28_vgpr29_vgpr30_vgpr31
	;; [unrolled: 2-line block ×8, first 2 shown]
                                        ; implicit-def: $vgpr14_vgpr15_vgpr16_vgpr17_vgpr18_vgpr19_vgpr20_vgpr21_vgpr22_vgpr23_vgpr24_vgpr25_vgpr26_vgpr27_vgpr28_vgpr29_vgpr30_vgpr31_vgpr32_vgpr33_vgpr34_vgpr35_vgpr36_vgpr37_vgpr38_vgpr39_vgpr40_vgpr41_vgpr42_vgpr43_vgpr44_vgpr45
                                        ; kill: killed $vgpr14_vgpr15_vgpr16_vgpr17_vgpr18_vgpr19_vgpr20_vgpr21_vgpr22_vgpr23_vgpr24_vgpr25_vgpr26_vgpr27_vgpr28_vgpr29_vgpr30_vgpr31_vgpr32_vgpr33_vgpr34_vgpr35_vgpr36_vgpr37_vgpr38_vgpr39_vgpr40_vgpr41_vgpr42_vgpr43_vgpr44_vgpr45
                                        ; implicit-def: $vgpr2_vgpr3_vgpr4_vgpr5_vgpr6_vgpr7_vgpr8_vgpr9_vgpr10_vgpr11_vgpr12_vgpr13_vgpr14_vgpr15_vgpr16_vgpr17_vgpr18_vgpr19_vgpr20_vgpr21_vgpr22_vgpr23_vgpr24_vgpr25_vgpr26_vgpr27_vgpr28_vgpr29_vgpr30_vgpr31_vgpr32_vgpr33
                                        ; kill: killed $vgpr2_vgpr3_vgpr4_vgpr5_vgpr6_vgpr7_vgpr8_vgpr9_vgpr10_vgpr11_vgpr12_vgpr13_vgpr14_vgpr15_vgpr16_vgpr17_vgpr18_vgpr19_vgpr20_vgpr21_vgpr22_vgpr23_vgpr24_vgpr25_vgpr26_vgpr27_vgpr28_vgpr29_vgpr30_vgpr31_vgpr32_vgpr33
                                        ; implicit-def: $vgpr14_vgpr15_vgpr16_vgpr17_vgpr18_vgpr19_vgpr20_vgpr21_vgpr22_vgpr23_vgpr24_vgpr25_vgpr26_vgpr27_vgpr28_vgpr29_vgpr30_vgpr31_vgpr32_vgpr33_vgpr34_vgpr35_vgpr36_vgpr37_vgpr38_vgpr39_vgpr40_vgpr41_vgpr42_vgpr43_vgpr44_vgpr45
                                        ; kill: killed $vgpr14_vgpr15_vgpr16_vgpr17_vgpr18_vgpr19_vgpr20_vgpr21_vgpr22_vgpr23_vgpr24_vgpr25_vgpr26_vgpr27_vgpr28_vgpr29_vgpr30_vgpr31_vgpr32_vgpr33_vgpr34_vgpr35_vgpr36_vgpr37_vgpr38_vgpr39_vgpr40_vgpr41_vgpr42_vgpr43_vgpr44_vgpr45
                                        ; implicit-def: $vgpr0_vgpr1_vgpr2_vgpr3_vgpr4_vgpr5_vgpr6_vgpr7_vgpr8_vgpr9_vgpr10_vgpr11_vgpr12_vgpr13_vgpr14_vgpr15_vgpr16_vgpr17_vgpr18_vgpr19_vgpr20_vgpr21_vgpr22_vgpr23_vgpr24_vgpr25_vgpr26_vgpr27_vgpr28_vgpr29_vgpr30_vgpr31
                                        ; kill: killed $vgpr0_vgpr1_vgpr2_vgpr3_vgpr4_vgpr5_vgpr6_vgpr7_vgpr8_vgpr9_vgpr10_vgpr11_vgpr12_vgpr13_vgpr14_vgpr15_vgpr16_vgpr17_vgpr18_vgpr19_vgpr20_vgpr21_vgpr22_vgpr23_vgpr24_vgpr25_vgpr26_vgpr27_vgpr28_vgpr29_vgpr30_vgpr31
                                        ; implicit-def: $vgpr2_vgpr3_vgpr4_vgpr5_vgpr6_vgpr7_vgpr8_vgpr9_vgpr10_vgpr11_vgpr12_vgpr13_vgpr14_vgpr15_vgpr16_vgpr17_vgpr18_vgpr19_vgpr20_vgpr21_vgpr22_vgpr23_vgpr24_vgpr25_vgpr26_vgpr27_vgpr28_vgpr29_vgpr30_vgpr31_vgpr32_vgpr33
                                        ; kill: killed $vgpr2_vgpr3_vgpr4_vgpr5_vgpr6_vgpr7_vgpr8_vgpr9_vgpr10_vgpr11_vgpr12_vgpr13_vgpr14_vgpr15_vgpr16_vgpr17_vgpr18_vgpr19_vgpr20_vgpr21_vgpr22_vgpr23_vgpr24_vgpr25_vgpr26_vgpr27_vgpr28_vgpr29_vgpr30_vgpr31_vgpr32_vgpr33
                                        ; implicit-def: $vgpr0_vgpr1_vgpr2_vgpr3_vgpr4_vgpr5_vgpr6_vgpr7_vgpr8_vgpr9_vgpr10_vgpr11_vgpr12_vgpr13_vgpr14_vgpr15_vgpr16_vgpr17_vgpr18_vgpr19_vgpr20_vgpr21_vgpr22_vgpr23_vgpr24_vgpr25_vgpr26_vgpr27_vgpr28_vgpr29_vgpr30_vgpr31
                                        ; kill: killed $vgpr0_vgpr1_vgpr2_vgpr3_vgpr4_vgpr5_vgpr6_vgpr7_vgpr8_vgpr9_vgpr10_vgpr11_vgpr12_vgpr13_vgpr14_vgpr15_vgpr16_vgpr17_vgpr18_vgpr19_vgpr20_vgpr21_vgpr22_vgpr23_vgpr24_vgpr25_vgpr26_vgpr27_vgpr28_vgpr29_vgpr30_vgpr31
                                        ; implicit-def: $vgpr2_vgpr3_vgpr4_vgpr5_vgpr6_vgpr7_vgpr8_vgpr9_vgpr10_vgpr11_vgpr12_vgpr13_vgpr14_vgpr15_vgpr16_vgpr17_vgpr18_vgpr19_vgpr20_vgpr21_vgpr22_vgpr23_vgpr24_vgpr25_vgpr26_vgpr27_vgpr28_vgpr29_vgpr30_vgpr31_vgpr32_vgpr33
                                        ; kill: killed $vgpr2_vgpr3_vgpr4_vgpr5_vgpr6_vgpr7_vgpr8_vgpr9_vgpr10_vgpr11_vgpr12_vgpr13_vgpr14_vgpr15_vgpr16_vgpr17_vgpr18_vgpr19_vgpr20_vgpr21_vgpr22_vgpr23_vgpr24_vgpr25_vgpr26_vgpr27_vgpr28_vgpr29_vgpr30_vgpr31_vgpr32_vgpr33
                                        ; implicit-def: $vgpr0_vgpr1_vgpr2_vgpr3_vgpr4_vgpr5_vgpr6_vgpr7_vgpr8_vgpr9_vgpr10_vgpr11_vgpr12_vgpr13_vgpr14_vgpr15_vgpr16_vgpr17_vgpr18_vgpr19_vgpr20_vgpr21_vgpr22_vgpr23_vgpr24_vgpr25_vgpr26_vgpr27_vgpr28_vgpr29_vgpr30_vgpr31
                                        ; kill: killed $vgpr0_vgpr1_vgpr2_vgpr3_vgpr4_vgpr5_vgpr6_vgpr7_vgpr8_vgpr9_vgpr10_vgpr11_vgpr12_vgpr13_vgpr14_vgpr15_vgpr16_vgpr17_vgpr18_vgpr19_vgpr20_vgpr21_vgpr22_vgpr23_vgpr24_vgpr25_vgpr26_vgpr27_vgpr28_vgpr29_vgpr30_vgpr31
                                        ; implicit-def: $vgpr0_vgpr1_vgpr2_vgpr3_vgpr4_vgpr5_vgpr6_vgpr7_vgpr8_vgpr9_vgpr10_vgpr11_vgpr12_vgpr13_vgpr14_vgpr15_vgpr16_vgpr17_vgpr18_vgpr19_vgpr20_vgpr21_vgpr22_vgpr23_vgpr24_vgpr25_vgpr26_vgpr27_vgpr28_vgpr29_vgpr30_vgpr31
                                        ; kill: killed $vgpr0_vgpr1_vgpr2_vgpr3_vgpr4_vgpr5_vgpr6_vgpr7_vgpr8_vgpr9_vgpr10_vgpr11_vgpr12_vgpr13_vgpr14_vgpr15_vgpr16_vgpr17_vgpr18_vgpr19_vgpr20_vgpr21_vgpr22_vgpr23_vgpr24_vgpr25_vgpr26_vgpr27_vgpr28_vgpr29_vgpr30_vgpr31
	;; [unrolled: 2-line block ×17, first 2 shown]
.LBB0_5:
	s_or_b64 exec, exec, s[38:39]
	s_movk_i32 s4, 0x11f4
	scratch_load_dwordx2 v[106:107], off, s4 ; 8-byte Folded Reload
	s_movk_i32 s4, 0x11fc
	scratch_load_dwordx2 v[108:109], off, s4 ; 8-byte Folded Reload
	;; [unrolled: 2-line block ×6, first 2 shown]
	v_mov_b32_e32 v0, -1
	s_mov_b64 s[2:3], 0
	v_mov_b32_e32 v2, 0
	scratch_store_dword off, v0, off offset:96
	s_branch .LBB0_7
.LBB0_6:                                ;   in Loop: Header=BB0_7 Depth=1
	s_or_b64 exec, exec, s[6:7]
	s_waitcnt vmcnt(0)
	v_cmp_gt_i32_e32 vcc, 0, v3
	s_or_b64 s[2:3], vcc, s[2:3]
	v_mov_b32_e32 v2, v3
	s_andn2_b64 exec, exec, s[2:3]
	s_cbranch_execz .LBB0_13
.LBB0_7:                                ; =>This Inner Loop Header: Depth=1
	v_lshlrev_b32_e32 v3, 2, v2
	v_add_u32_e32 v5, 16, v3
	v_add_u32_e32 v3, v5, v3
	scratch_load_dwordx2 v[6:7], v3, off
	s_nop 0
	scratch_load_dword v3, v5, off offset:40
	s_mov_b64 s[4:5], 0
                                        ; implicit-def: $vgpr4
	s_waitcnt vmcnt(1)
	v_cmp_ngt_f64_e32 vcc, 0, v[6:7]
	s_and_saveexec_b64 s[6:7], vcc
	s_xor_b64 s[6:7], exec, s[6:7]
	s_cbranch_execnz .LBB0_10
; %bb.8:                                ;   in Loop: Header=BB0_7 Depth=1
	s_andn2_saveexec_b64 s[6:7], s[6:7]
	s_cbranch_execnz .LBB0_11
.LBB0_9:                                ;   in Loop: Header=BB0_7 Depth=1
	s_or_b64 exec, exec, s[6:7]
	s_and_saveexec_b64 s[6:7], s[4:5]
	s_cbranch_execz .LBB0_6
	s_branch .LBB0_12
.LBB0_10:                               ;   in Loop: Header=BB0_7 Depth=1
	scratch_load_dword v4, off, off offset:96
                                        ; implicit-def: $vgpr5
	s_waitcnt vmcnt(0)
	v_cmp_eq_u32_e32 vcc, -1, v4
	v_mov_b32_e32 v4, 0x60
	s_and_b64 s[4:5], vcc, exec
	s_andn2_saveexec_b64 s[6:7], s[6:7]
	s_cbranch_execz .LBB0_9
.LBB0_11:                               ;   in Loop: Header=BB0_7 Depth=1
	scratch_load_dword v6, off, off offset:100
	v_mov_b32_e32 v4, 0x64
	s_or_b64 s[4:5], s[4:5], exec
	s_waitcnt vmcnt(0)
	scratch_store_dword v5, v6, off offset:40
	s_or_b64 exec, exec, s[6:7]
	s_and_saveexec_b64 s[6:7], s[4:5]
	s_cbranch_execz .LBB0_6
.LBB0_12:                               ;   in Loop: Header=BB0_7 Depth=1
	scratch_store_dword v4, v2, off
	s_branch .LBB0_6
.LBB0_13:
	s_or_b64 exec, exec, s[2:3]
	v_mov_b64_e32 v[116:117], v[52:53]
	s_and_saveexec_b64 s[2:3], s[0:1]
	s_cbranch_execz .LBB0_15
; %bb.14:
	s_movk_i32 s0, 0x12ac
	scratch_load_dword v0, off, s0          ; 4-byte Folded Reload
	s_movk_i32 s0, 0x12b4
	scratch_load_dwordx4 v[6:9], off, s0    ; 16-byte Folded Reload
	v_lshlrev_b32_e32 v2, 2, v156
	v_mov_b32_e32 v3, 16
	v_add3_u32 v2, v3, v2, 40
	s_waitcnt vmcnt(1)
	v_lshlrev_b32_e32 v4, 2, v0
	v_add3_u32 v4, v3, v4, 40
	s_waitcnt vmcnt(0)
	v_cmp_gt_f64_e32 vcc, 0, v[6:7]
	s_or_b64 s[0:1], s[36:37], vcc
	v_cndmask_b32_e64 v5, v157, -1, s[0:1]
	s_movk_i32 s0, 0x12b0
	scratch_load_dword v1, off, s0          ; 4-byte Folded Reload
	s_waitcnt vmcnt(0)
	v_lshlrev_b32_e32 v6, 2, v1
	v_add3_u32 v3, v3, v6, 40
	scratch_store_dword v2, v0, off
	scratch_store_dword v4, v1, off
	scratch_store_dword v3, v5, off
.LBB0_15:
	s_or_b64 exec, exec, s[2:3]
	scratch_load_dword v142, off, off offset:96
	scratch_load_dwordx4 v[44:47], off, off offset:756 ; 16-byte Folded Reload
	scratch_load_dwordx4 v[48:51], off, off offset:772 ; 16-byte Folded Reload
	;; [unrolled: 1-line block ×16, first 2 shown]
	v_mov_b64_e32 v[8:9], v[116:117]
	v_mov_b64_e32 v[80:81], -1
	v_mov_b32_e32 v100, -1
	v_mov_b32_e32 v101, -1
	v_mov_b64_e32 v[138:139], 0
	s_waitcnt vmcnt(16)
	v_cmp_eq_u32_e32 vcc, 1, v142
	s_nop 1
	v_cndmask_b32_e32 v2, v147, v109, vcc
	v_cmp_eq_u32_e64 s[0:1], 2, v142
	v_cmp_eq_u32_e64 s[2:3], 3, v142
	s_waitcnt vmcnt(14)
	v_mov_b64_e32 v[6:7], v[50:51]
	v_cndmask_b32_e64 v2, v2, v107, s[0:1]
	v_cndmask_b32_e32 v3, v146, v108, vcc
	v_cndmask_b32_e64 v2, v2, v7, s[2:3]
	v_cndmask_b32_e64 v3, v3, v106, s[0:1]
	v_cmp_eq_u32_e32 vcc, 4, v142
	v_cndmask_b32_e64 v3, v3, v6, s[2:3]
	v_cmp_eq_u32_e64 s[0:1], 5, v142
	v_cndmask_b32_e32 v2, v2, v9, vcc
	v_cndmask_b32_e32 v3, v3, v8, vcc
	s_waitcnt vmcnt(5)
	v_cndmask_b32_e64 v2, v2, v21, s[0:1]
	scratch_load_dwordx4 v[4:7], off, off offset:3188 ; 16-byte Folded Reload
	scratch_load_dwordx4 v[8:11], off, off offset:3204 ; 16-byte Folded Reload
	;; [unrolled: 1-line block ×8, first 2 shown]
	v_cmp_eq_u32_e32 vcc, 6, v142
	s_waitcnt vmcnt(4)
	s_nop 0
	v_cndmask_b32_e32 v2, v2, v17, vcc
	scratch_load_dwordx4 v[4:7], off, off offset:3828 ; 16-byte Folded Reload
	scratch_load_dwordx4 v[8:11], off, off offset:3844 ; 16-byte Folded Reload
	;; [unrolled: 1-line block ×8, first 2 shown]
	s_waitcnt vmcnt(5)
	v_cndmask_b32_e64 v3, v3, v14, s[0:1]
	scratch_load_dwordx4 v[4:7], off, off offset:3060 ; 16-byte Folded Reload
	scratch_load_dwordx4 v[8:11], off, off offset:3076 ; 16-byte Folded Reload
	;; [unrolled: 1-line block ×8, first 2 shown]
	v_cmp_eq_u32_e64 s[0:1], 7, v142
	s_waitcnt vmcnt(4)
	s_nop 0
	v_cndmask_b32_e64 v2, v2, v19, s[0:1]
	scratch_load_dwordx4 v[4:7], off, off offset:3700 ; 16-byte Folded Reload
	scratch_load_dwordx4 v[8:11], off, off offset:3716 ; 16-byte Folded Reload
	;; [unrolled: 1-line block ×8, first 2 shown]
	s_waitcnt vmcnt(4)
	v_cndmask_b32_e32 v3, v3, v16, vcc
	scratch_load_dwordx4 v[4:7], off, off offset:3572 ; 16-byte Folded Reload
	scratch_load_dwordx4 v[8:11], off, off offset:3588 ; 16-byte Folded Reload
	;; [unrolled: 1-line block ×8, first 2 shown]
	v_cmp_eq_u32_e32 vcc, 8, v142
	s_waitcnt vmcnt(4)
	v_cndmask_b32_e64 v3, v3, v18, s[0:1]
	scratch_load_dwordx4 v[4:7], off, off offset:2932 ; 16-byte Folded Reload
	scratch_load_dwordx4 v[8:11], off, off offset:2948 ; 16-byte Folded Reload
	;; [unrolled: 1-line block ×8, first 2 shown]
	v_cmp_lt_i32_e64 s[0:1], -1, v142
	s_waitcnt vmcnt(3)
	v_cndmask_b32_e32 v141, v2, v21, vcc
	scratch_load_dwordx4 v[4:7], off, off offset:3444 ; 16-byte Folded Reload
	scratch_load_dwordx4 v[8:11], off, off offset:3460 ; 16-byte Folded Reload
	;; [unrolled: 1-line block ×8, first 2 shown]
	s_waitcnt vmcnt(6)
	v_mov_b64_e32 v[8:9], v[80:81]
	s_waitcnt vmcnt(3)
	v_cndmask_b32_e32 v140, v3, v20, vcc
	s_and_saveexec_b64 s[10:11], s[0:1]
	s_cbranch_execz .LBB0_19
; %bb.16:
	scratch_load_dword v17, off, off offset:112 ; 4-byte Folded Reload
	scratch_load_dwordx4 v[44:47], off, off offset:756 ; 16-byte Folded Reload
	scratch_load_dwordx4 v[48:51], off, off offset:772 ; 16-byte Folded Reload
	;; [unrolled: 1-line block ×8, first 2 shown]
	s_mov_b64 s[12:13], 0
	v_mov_b32_e32 v100, -1
	v_mov_b32_e32 v7, v142
	v_mov_b32_e32 v80, -1
	v_mov_b32_e32 v8, -1
	;; [unrolled: 1-line block ×3, first 2 shown]
	v_mov_b64_e32 v[10:11], v[140:141]
	v_mov_b64_e32 v[22:23], v[116:117]
	s_waitcnt vmcnt(6)
	v_mov_b64_e32 v[20:21], v[50:51]
	scratch_load_dwordx4 v[24:27], off, off offset:2932 ; 16-byte Folded Reload
	scratch_load_dwordx4 v[28:31], off, off offset:2948 ; 16-byte Folded Reload
	;; [unrolled: 1-line block ×16, first 2 shown]
	s_waitcnt vmcnt(11)
	v_mov_b32_e32 v19, v41
	s_waitcnt vmcnt(4)
	v_mov_b32_e32 v25, v57
	scratch_load_dwordx4 v[42:45], off, off offset:3188 ; 16-byte Folded Reload
	scratch_load_dwordx4 v[46:49], off, off offset:3204 ; 16-byte Folded Reload
	scratch_load_dwordx4 v[50:53], off, off offset:3220 ; 16-byte Folded Reload
	scratch_load_dwordx4 v[54:57], off, off offset:3236 ; 16-byte Folded Reload
	scratch_load_dwordx4 v[58:61], off, off offset:3252 ; 16-byte Folded Reload
	scratch_load_dwordx4 v[62:65], off, off offset:3268 ; 16-byte Folded Reload
	scratch_load_dwordx4 v[66:69], off, off offset:3284 ; 16-byte Folded Reload
	scratch_load_dwordx4 v[70:73], off, off offset:3300 ; 16-byte Folded Reload
	s_waitcnt vmcnt(4)
	v_mov_b32_e32 v13, v55
	scratch_load_dwordx4 v[26:29], off, off offset:3316 ; 16-byte Folded Reload
	scratch_load_dwordx4 v[30:33], off, off offset:3332 ; 16-byte Folded Reload
	scratch_load_dwordx4 v[34:37], off, off offset:3348 ; 16-byte Folded Reload
	scratch_load_dwordx4 v[38:41], off, off offset:3364 ; 16-byte Folded Reload
	scratch_load_dwordx4 v[42:45], off, off offset:3380 ; 16-byte Folded Reload
	scratch_load_dwordx4 v[46:49], off, off offset:3396 ; 16-byte Folded Reload
	scratch_load_dwordx4 v[50:53], off, off offset:3412 ; 16-byte Folded Reload
	scratch_load_dwordx4 v[54:57], off, off offset:3428 ; 16-byte Folded Reload
	;; [unrolled: 10-line block ×6, first 2 shown]
	s_waitcnt vmcnt(5)
	v_mov_b32_e32 v26, v38
.LBB0_17:                               ; =>This Inner Loop Header: Depth=1
	v_lshl_add_u32 v2, v7, 2, v17
	scratch_load_dword v9, v2, off
	v_mov_b64_e32 v[138:139], v[10:11]
	s_waitcnt vmcnt(0)
	v_cmp_gt_i32_e32 vcc, 0, v9
	s_nop 1
	v_cndmask_b32_e32 v16, v9, v142, vcc
	v_cmp_eq_u32_e64 s[2:3], 1, v16
	v_cmp_eq_u32_e64 s[4:5], 2, v16
	;; [unrolled: 1-line block ×3, first 2 shown]
	v_cndmask_b32_e64 v2, v147, v109, s[2:3]
	v_cndmask_b32_e64 v3, v146, v108, s[2:3]
	;; [unrolled: 1-line block ×5, first 2 shown]
	v_cmp_eq_u32_e64 s[2:3], 4, v16
	v_cndmask_b32_e64 v3, v3, v20, s[6:7]
	v_cmp_eq_u32_e64 s[4:5], 5, v16
	v_cndmask_b32_e64 v2, v2, v23, s[2:3]
	v_cndmask_b32_e64 v3, v3, v22, s[2:3]
	;; [unrolled: 1-line block ×3, first 2 shown]
	v_cmp_eq_u32_e64 s[2:3], 6, v16
	v_cndmask_b32_e64 v3, v3, v26, s[4:5]
	v_cmp_eq_u32_e64 s[4:5], 7, v16
	v_cndmask_b32_e64 v2, v2, v13, s[2:3]
	v_cndmask_b32_e64 v3, v3, v12, s[2:3]
	;; [unrolled: 1-line block ×4, first 2 shown]
	v_cmp_eq_u32_e64 s[2:3], 8, v16
	v_cmp_gt_f64_e64 s[4:5], 0, v[138:139]
	s_nop 0
	v_cndmask_b32_e64 v15, v2, v19, s[2:3]
	v_cndmask_b32_e64 v14, v3, v18, s[2:3]
	v_cmp_le_f64_e64 s[2:3], 0, v[138:139]
	v_cmp_gt_f64_e64 s[6:7], 0, v[14:15]
	v_cmp_le_f64_e64 s[8:9], 0, v[14:15]
	s_and_b64 s[2:3], s[2:3], s[6:7]
	s_and_b64 s[4:5], s[4:5], s[8:9]
	v_cndmask_b32_e64 v8, v8, v16, s[2:3]
	v_cndmask_b32_e64 v101, v101, v16, s[4:5]
	;; [unrolled: 1-line block ×4, first 2 shown]
	s_or_b64 s[12:13], vcc, s[12:13]
	v_mov_b32_e32 v7, v9
	v_mov_b64_e32 v[10:11], v[14:15]
	s_andn2_b64 exec, exec, s[12:13]
	s_cbranch_execnz .LBB0_17
; %bb.18:
	s_or_b64 exec, exec, s[12:13]
.LBB0_19:
	s_or_b64 exec, exec, s[10:11]
	v_cmp_lt_i32_e64 s[2:3], -1, v100
	v_mov_b32_e32 v103, -1
	v_mov_b32_e32 v102, -1
	;; [unrolled: 1-line block ×3, first 2 shown]
	s_and_saveexec_b64 s[54:55], s[2:3]
	s_cbranch_execz .LBB0_21
; %bb.20:
	scratch_load_dwordx4 v[44:47], off, off offset:756 ; 16-byte Folded Reload
	scratch_load_dwordx4 v[48:51], off, off offset:772 ; 16-byte Folded Reload
	;; [unrolled: 1-line block ×8, first 2 shown]
	v_cmp_eq_u32_e64 s[4:5], 1, v8
	v_cmp_eq_u32_e64 s[6:7], 2, v8
	;; [unrolled: 1-line block ×3, first 2 shown]
	v_cndmask_b32_e64 v7, v147, v109, s[4:5]
	v_cndmask_b32_e64 v7, v7, v107, s[6:7]
	v_cmp_eq_u32_e64 s[10:11], 4, v8
	v_cmp_eq_u32_e64 s[12:13], 5, v8
	;; [unrolled: 1-line block ×6, first 2 shown]
	v_cndmask_b32_e64 v8, v146, v108, s[4:5]
	v_cmp_eq_u32_e64 s[22:23], 2, v100
	v_cndmask_b32_e64 v10, v146, v108, s[20:21]
	v_cndmask_b32_e64 v8, v8, v106, s[6:7]
	v_cmp_eq_u32_e64 s[24:25], 3, v100
	v_cndmask_b32_e64 v10, v10, v106, s[22:23]
	v_cmp_eq_u32_e64 s[26:27], 4, v100
	v_cmp_eq_u32_e64 s[28:29], 5, v100
	;; [unrolled: 1-line block ×5, first 2 shown]
	s_movk_i32 s33, 0x1074
	s_waitcnt vmcnt(6)
	v_mov_b64_e32 v[30:31], v[50:51]
	scratch_load_dwordx4 v[32:35], off, off offset:3316 ; 16-byte Folded Reload
	scratch_load_dwordx4 v[36:39], off, off offset:3332 ; 16-byte Folded Reload
	;; [unrolled: 1-line block ×8, first 2 shown]
	v_cndmask_b32_e64 v7, v7, v31, s[8:9]
	v_cndmask_b32_e64 v7, v7, v117, s[10:11]
	v_cndmask_b32_e64 v8, v8, v30, s[8:9]
	v_cndmask_b32_e64 v10, v10, v30, s[24:25]
	v_cndmask_b32_e64 v8, v8, v116, s[10:11]
	v_cndmask_b32_e64 v10, v10, v116, s[26:27]
	s_waitcnt vmcnt(5)
	v_mov_b32_e32 v65, v43
	scratch_load_dwordx4 v[32:35], off, off offset:3188 ; 16-byte Folded Reload
	scratch_load_dwordx4 v[36:39], off, off offset:3204 ; 16-byte Folded Reload
	scratch_load_dwordx4 v[40:43], off, off offset:3220 ; 16-byte Folded Reload
	scratch_load_dwordx4 v[44:47], off, off offset:3236 ; 16-byte Folded Reload
	scratch_load_dwordx4 v[48:51], off, off offset:3252 ; 16-byte Folded Reload
	scratch_load_dwordx4 v[52:55], off, off offset:3268 ; 16-byte Folded Reload
	scratch_load_dwordx4 v[56:59], off, off offset:3284 ; 16-byte Folded Reload
	scratch_load_dwordx4 v[60:63], off, off offset:3300 ; 16-byte Folded Reload
	v_cndmask_b32_e64 v7, v7, v65, s[12:13]
	s_waitcnt vmcnt(4)
	v_mov_b32_e32 v13, v45
	scratch_load_dwordx4 v[32:35], off, off offset:3060 ; 16-byte Folded Reload
	scratch_load_dwordx4 v[36:39], off, off offset:3076 ; 16-byte Folded Reload
	scratch_load_dwordx4 v[40:43], off, off offset:3092 ; 16-byte Folded Reload
	scratch_load_dwordx4 v[44:47], off, off offset:3108 ; 16-byte Folded Reload
	scratch_load_dwordx4 v[48:51], off, off offset:3124 ; 16-byte Folded Reload
	scratch_load_dwordx4 v[52:55], off, off offset:3140 ; 16-byte Folded Reload
	scratch_load_dwordx4 v[56:59], off, off offset:3156 ; 16-byte Folded Reload
	scratch_load_dwordx4 v[60:63], off, off offset:3172 ; 16-byte Folded Reload
	v_cndmask_b32_e64 v7, v7, v13, s[14:15]
	;; [unrolled: 11-line block ×4, first 2 shown]
	v_cndmask_b32_e64 v10, v10, v64, s[28:29]
	s_waitcnt vmcnt(4)
	v_mov_b32_e32 v12, v44
	scratch_load_dwordx4 v[32:35], off, off offset:3572 ; 16-byte Folded Reload
	scratch_load_dwordx4 v[36:39], off, off offset:3588 ; 16-byte Folded Reload
	;; [unrolled: 1-line block ×8, first 2 shown]
	v_cndmask_b32_e64 v8, v8, v12, s[14:15]
	v_cndmask_b32_e64 v10, v10, v12, s[30:31]
	s_waitcnt vmcnt(4)
	v_mov_b32_e32 v20, v46
	scratch_load_dwordx4 v[32:35], off, off offset:2932 ; 16-byte Folded Reload
	scratch_load_dwordx4 v[36:39], off, off offset:2948 ; 16-byte Folded Reload
	;; [unrolled: 1-line block ×8, first 2 shown]
	v_cndmask_b32_e64 v8, v8, v20, s[16:17]
	v_cndmask_b32_e64 v10, v10, v20, s[34:35]
	s_waitcnt vmcnt(3)
	v_mov_b32_e32 v19, v49
	scratch_load_dwordx4 v[32:35], off, off offset:3444 ; 16-byte Folded Reload
	scratch_load_dwordx4 v[36:39], off, off offset:3460 ; 16-byte Folded Reload
	;; [unrolled: 1-line block ×8, first 2 shown]
	scratch_load_dword v102, off, off offset:100
	v_cndmask_b32_e64 v9, v7, v19, s[18:19]
	v_cndmask_b32_e64 v7, v147, v109, s[20:21]
	;; [unrolled: 1-line block ×11, first 2 shown]
	s_waitcnt vmcnt(4)
	v_mov_b32_e32 v18, v48
	v_cndmask_b32_e64 v8, v8, v18, s[18:19]
	v_cndmask_b32_e64 v16, v10, v18, s[38:39]
	v_add_f64 v[10:11], -v[8:9], 0
	v_add_f64 v[14:15], v[16:17], -v[8:9]
	v_div_scale_f64 v[22:23], s[36:37], v[14:15], v[14:15], v[10:11]
	v_rcp_f64_e32 v[24:25], v[22:23]
	s_waitcnt vmcnt(0)
	v_cmp_eq_u32_e64 s[46:47], 5, v102
	v_cmp_eq_u32_e64 s[40:41], 8, v102
	;; [unrolled: 1-line block ×3, first 2 shown]
	v_fma_f64 v[26:27], -v[22:23], v[24:25], 1.0
	v_fmac_f64_e32 v[24:25], v[24:25], v[26:27]
	v_fma_f64 v[26:27], -v[22:23], v[24:25], 1.0
	v_fmac_f64_e32 v[24:25], v[24:25], v[26:27]
	v_div_scale_f64 v[26:27], vcc, v[10:11], v[14:15], v[10:11]
	v_mul_f64 v[28:29], v[26:27], v[24:25]
	v_fma_f64 v[22:23], -v[22:23], v[28:29], v[26:27]
	v_cmp_eq_u32_e64 s[44:45], 6, v102
	s_nop 0
	v_div_fmas_f64 v[22:23], v[22:23], v[24:25], v[28:29]
	v_div_fixup_f64 v[66:67], v[22:23], v[14:15], v[10:11]
	v_add_f64 v[68:69], -v[66:67], 1.0
	v_mul_f64 v[72:73], v[8:9], v[68:69]
	v_fmac_f64_e32 v[72:73], v[16:17], v[66:67]
	v_cndmask_b32_e64 v123, v64, v72, s[46:47]
	v_cndmask_b32_e64 v124, v65, v73, s[46:47]
	v_cmp_eq_u32_e64 s[36:37], 3, v102
	scratch_load_dwordx4 v[34:37], off, s33 ; 16-byte Folded Reload
	scratch_load_dwordx4 v[38:41], off, s33 offset:16 ; 16-byte Folded Reload
	scratch_load_dwordx4 v[42:45], off, s33 offset:32 ; 16-byte Folded Reload
	;; [unrolled: 1-line block ×7, first 2 shown]
	v_cndmask_b32_e64 v118, v18, v72, s[40:41]
	v_cndmask_b32_e64 v119, v20, v72, s[42:43]
	;; [unrolled: 1-line block ×8, first 2 shown]
	scratch_load_dwordx4 v[8:11], off, off offset:1396 ; 16-byte Folded Reload
	scratch_load_dwordx4 v[12:15], off, off offset:1412 ; 16-byte Folded Reload
	;; [unrolled: 1-line block ×8, first 2 shown]
	v_cmp_eq_u32_e32 vcc, 4, v102
	s_movk_i32 s33, 0x1174
	s_waitcnt vmcnt(10)
	v_mov_b64_e32 v[56:57], v[40:41]
	v_cndmask_b32_e64 v7, v7, v57, s[24:25]
	v_cndmask_b32_e32 v84, v117, v73, vcc
	v_cndmask_b32_e32 v75, v116, v72, vcc
	s_waitcnt vmcnt(5)
	v_mov_b64_e32 v[58:59], v[16:17]
	scratch_load_dwordx4 v[8:11], off, off offset:2292 ; 16-byte Folded Reload
	scratch_load_dwordx4 v[12:15], off, off offset:2308 ; 16-byte Folded Reload
	;; [unrolled: 1-line block ×8, first 2 shown]
	v_cndmask_b32_e64 v7, v7, v59, s[26:27]
	s_waitcnt vmcnt(5)
	v_mov_b32_e32 v63, v19
	scratch_load_dwordx4 v[8:11], off, off offset:2164 ; 16-byte Folded Reload
	scratch_load_dwordx4 v[12:15], off, off offset:2180 ; 16-byte Folded Reload
	;; [unrolled: 1-line block ×16, first 2 shown]
	s_waitcnt vmcnt(13)
	v_cndmask_b32_e64 v16, v104, v114, s[20:21]
	v_cndmask_b32_e64 v16, v16, v112, s[22:23]
	;; [unrolled: 1-line block ×5, first 2 shown]
	s_waitcnt vmcnt(12)
	v_mov_b32_e32 v61, v21
	s_waitcnt vmcnt(0)
	v_mov_b32_e32 v53, v39
	scratch_load_dwordx4 v[18:21], off, off offset:2804 ; 16-byte Folded Reload
	scratch_load_dwordx4 v[22:25], off, off offset:2820 ; 16-byte Folded Reload
	;; [unrolled: 1-line block ×8, first 2 shown]
	v_cndmask_b32_e64 v7, v7, v61, s[30:31]
	v_cndmask_b32_e64 v52, v7, v53, s[34:35]
	s_waitcnt vmcnt(5)
	v_mov_b32_e32 v60, v28
	scratch_load_dwordx4 v[18:21], off, off offset:2676 ; 16-byte Folded Reload
	scratch_load_dwordx4 v[22:25], off, off offset:2692 ; 16-byte Folded Reload
	;; [unrolled: 1-line block ×8, first 2 shown]
	v_cndmask_b32_e64 v16, v16, v60, s[28:29]
	s_waitcnt vmcnt(4)
	v_mov_b32_e32 v54, v30
	scratch_load_dwordx4 v[20:23], off, off offset:2548 ; 16-byte Folded Reload
	scratch_load_dwordx4 v[24:27], off, off offset:2564 ; 16-byte Folded Reload
	;; [unrolled: 1-line block ×8, first 2 shown]
	v_cndmask_b32_e64 v16, v16, v54, s[30:31]
	s_waitcnt vmcnt(3)
	v_cndmask_b32_e64 v37, v16, v34, s[34:35]
	scratch_load_dwordx4 v[2:5], off, off offset:1908 ; 16-byte Folded Reload
	scratch_load_dwordx4 v[6:9], off, off offset:1924 ; 16-byte Folded Reload
	;; [unrolled: 1-line block ×8, first 2 shown]
	s_waitcnt vmcnt(3)
	v_mov_b32_e32 v35, v19
	scratch_load_dwordx4 v[2:5], off, off offset:2420 ; 16-byte Folded Reload
	scratch_load_dwordx4 v[6:9], off, off offset:2436 ; 16-byte Folded Reload
	;; [unrolled: 1-line block ×8, first 2 shown]
	s_waitcnt vmcnt(6)
	v_cndmask_b32_e64 v7, v105, v115, s[4:5]
	s_waitcnt vmcnt(4)
	v_cndmask_b32_e64 v16, v104, v114, s[4:5]
	v_cndmask_b32_e64 v7, v7, v113, s[6:7]
	;; [unrolled: 1-line block ×19, first 2 shown]
	s_waitcnt vmcnt(3)
	v_cndmask_b32_e64 v16, v16, v18, s[18:19]
	v_cndmask_b32_e64 v40, v37, v18, s[38:39]
	v_mul_f64 v[64:65], v[16:17], v[68:69]
	v_fmac_f64_e32 v[64:65], v[40:41], v[66:67]
	v_cndmask_b32_e64 v133, v18, v64, s[40:41]
	v_cndmask_b32_e64 v132, v34, v64, s[42:43]
	v_cndmask_b32_e64 v137, v35, v65, s[40:41]
	scratch_load_dwordx4 v[18:21], off, off offset:1140 ; 16-byte Folded Reload
	scratch_load_dwordx4 v[22:25], off, off offset:1156 ; 16-byte Folded Reload
	;; [unrolled: 1-line block ×8, first 2 shown]
	v_cndmask_b32_e64 v136, v53, v65, s[42:43]
	v_cndmask_b32_e32 v53, v59, v65, vcc
	v_cndmask_b32_e64 v51, v57, v65, s[36:37]
	v_cndmask_b32_e32 v96, v58, v64, vcc
	v_cndmask_b32_e64 v50, v56, v64, s[36:37]
	v_cndmask_b32_e64 v131, v54, v64, s[44:45]
	;; [unrolled: 1-line block ×5, first 2 shown]
	s_waitcnt vmcnt(5)
	v_mov_b32_e32 v59, v29
	scratch_load_dwordx4 v[18:21], off, off offset:1012 ; 16-byte Folded Reload
	scratch_load_dwordx4 v[22:25], off, off offset:1028 ; 16-byte Folded Reload
	scratch_load_dwordx4 v[26:29], off, off offset:1044 ; 16-byte Folded Reload
	scratch_load_dwordx4 v[30:33], off, off offset:1060 ; 16-byte Folded Reload
	scratch_load_dwordx4 v[34:37], off, off offset:1076 ; 16-byte Folded Reload
	scratch_load_dwordx4 v[38:41], off, off offset:1092 ; 16-byte Folded Reload
	scratch_load_dwordx4 v[42:45], off, off offset:1108 ; 16-byte Folded Reload
	scratch_load_dwordx4 v[46:49], off, off offset:1124 ; 16-byte Folded Reload
	v_cndmask_b32_e64 v7, v7, v59, s[28:29]
	s_waitcnt vmcnt(4)
	v_mov_b32_e32 v57, v31
	scratch_load_dwordx4 v[18:21], off, off offset:884 ; 16-byte Folded Reload
	scratch_load_dwordx4 v[22:25], off, off offset:900 ; 16-byte Folded Reload
	;; [unrolled: 1-line block ×8, first 2 shown]
	s_waitcnt vmcnt(2)
	v_cndmask_b32_e64 v40, v160, v154, s[20:21]
	v_cndmask_b32_e64 v40, v40, v110, s[22:23]
	;; [unrolled: 1-line block ×5, first 2 shown]
	v_mov_b32_e32 v55, v33
	scratch_load_dwordx4 v[8:11], off, off offset:1780 ; 16-byte Folded Reload
	scratch_load_dwordx4 v[12:15], off, off offset:1796 ; 16-byte Folded Reload
	scratch_load_dwordx4 v[16:19], off, off offset:1812 ; 16-byte Folded Reload
	scratch_load_dwordx4 v[20:23], off, off offset:1828 ; 16-byte Folded Reload
	scratch_load_dwordx4 v[24:27], off, off offset:1844 ; 16-byte Folded Reload
	scratch_load_dwordx4 v[28:31], off, off offset:1860 ; 16-byte Folded Reload
	scratch_load_dwordx4 v[32:35], off, off offset:1876 ; 16-byte Folded Reload
	scratch_load_dwordx4 v[36:39], off, off offset:1892 ; 16-byte Folded Reload
	v_cndmask_b32_e64 v7, v7, v55, s[34:35]
	s_waitcnt vmcnt(5)
	v_mov_b32_e32 v58, v18
	scratch_load_dwordx4 v[8:11], off, off offset:1652 ; 16-byte Folded Reload
	scratch_load_dwordx4 v[12:15], off, off offset:1668 ; 16-byte Folded Reload
	scratch_load_dwordx4 v[16:19], off, off offset:1684 ; 16-byte Folded Reload
	scratch_load_dwordx4 v[20:23], off, off offset:1700 ; 16-byte Folded Reload
	scratch_load_dwordx4 v[24:27], off, off offset:1716 ; 16-byte Folded Reload
	scratch_load_dwordx4 v[28:31], off, off offset:1732 ; 16-byte Folded Reload
	scratch_load_dwordx4 v[32:35], off, off offset:1748 ; 16-byte Folded Reload
	scratch_load_dwordx4 v[36:39], off, off offset:1764 ; 16-byte Folded Reload
	v_cndmask_b32_e64 v40, v40, v58, s[28:29]
	s_waitcnt vmcnt(4)
	;; [unrolled: 11-line block ×3, first 2 shown]
	v_mov_b32_e32 v54, v22
	v_cndmask_b32_e64 v52, v40, v54, s[34:35]
	scratch_load_dwordx4 v[18:21], off, s33 ; 16-byte Folded Reload
	scratch_load_dwordx4 v[22:25], off, s33 offset:16 ; 16-byte Folded Reload
	scratch_load_dwordx4 v[26:29], off, s33 offset:32 ; 16-byte Folded Reload
	;; [unrolled: 1-line block ×7, first 2 shown]
	s_waitcnt vmcnt(1)
	v_cndmask_b32_e64 v44, v160, v154, s[4:5]
	v_cndmask_b32_e64 v44, v44, v110, s[6:7]
	;; [unrolled: 1-line block ×8, first 2 shown]
	scratch_load_dwordx4 v[2:5], off, off offset:1268 ; 16-byte Folded Reload
	scratch_load_dwordx4 v[6:9], off, off offset:1284 ; 16-byte Folded Reload
	;; [unrolled: 1-line block ×8, first 2 shown]
	s_waitcnt vmcnt(6)
	v_cndmask_b32_e64 v7, v161, v155, s[4:5]
	v_cndmask_b32_e64 v7, v7, v111, s[6:7]
	;; [unrolled: 1-line block ×12, first 2 shown]
	s_waitcnt vmcnt(3)
	v_cndmask_b32_e64 v44, v44, v18, s[18:19]
	v_cndmask_b32_e64 v40, v52, v18, s[38:39]
	v_mul_f64 v[62:63], v[44:45], v[68:69]
	v_fmac_f64_e32 v[62:63], v[40:41], v[66:67]
	v_cndmask_b32_e64 v45, v18, v62, s[40:41]
	v_cndmask_b32_e64 v52, v35, v63, s[40:41]
	scratch_load_dwordx4 v[8:11], off, off offset:116 ; 16-byte Folded Reload
	scratch_load_dwordx4 v[12:15], off, off offset:132 ; 16-byte Folded Reload
	;; [unrolled: 1-line block ×8, first 2 shown]
	v_cndmask_b32_e64 v46, v59, v63, s[46:47]
	v_cndmask_b32_e64 v41, v56, v62, s[44:45]
	;; [unrolled: 1-line block ×3, first 2 shown]
	s_movk_i32 s4, 0xff4
	v_cndmask_b32_e64 v40, v58, v62, s[46:47]
	v_cndmask_b32_e64 v47, v57, v63, s[44:45]
	;; [unrolled: 1-line block ×6, first 2 shown]
	v_cndmask_b32_e32 v54, v86, v62, vcc
	v_cmp_eq_u32_e64 s[6:7], 2, v80
	v_cmp_eq_u32_e64 s[8:9], 3, v80
	v_cmp_eq_u32_e64 s[10:11], 4, v80
	v_cndmask_b32_e64 v42, v128, v62, s[36:37]
	v_cndmask_b32_e64 v43, v129, v63, s[36:37]
	;; [unrolled: 1-line block ×3, first 2 shown]
	v_cndmask_b32_e32 v55, v87, v63, vcc
	s_waitcnt vmcnt(5)
	v_mov_b32_e32 v71, v19
	scratch_load_dwordx4 v[8:11], off, off offset:500 ; 16-byte Folded Reload
	scratch_load_dwordx4 v[12:15], off, off offset:516 ; 16-byte Folded Reload
	scratch_load_dwordx4 v[16:19], off, off offset:532 ; 16-byte Folded Reload
	scratch_load_dwordx4 v[20:23], off, off offset:548 ; 16-byte Folded Reload
	scratch_load_dwordx4 v[24:27], off, off offset:564 ; 16-byte Folded Reload
	scratch_load_dwordx4 v[28:31], off, off offset:580 ; 16-byte Folded Reload
	scratch_load_dwordx4 v[32:35], off, off offset:596 ; 16-byte Folded Reload
	scratch_load_dwordx4 v[36:39], off, off offset:612 ; 16-byte Folded Reload
	v_cndmask_b32_e64 v7, v7, v71, s[12:13]
	s_waitcnt vmcnt(4)
	v_mov_b32_e32 v59, v21
	scratch_load_dwordx4 v[8:11], off, off offset:372 ; 16-byte Folded Reload
	scratch_load_dwordx4 v[12:15], off, off offset:388 ; 16-byte Folded Reload
	scratch_load_dwordx4 v[16:19], off, off offset:404 ; 16-byte Folded Reload
	scratch_load_dwordx4 v[20:23], off, off offset:420 ; 16-byte Folded Reload
	scratch_load_dwordx4 v[24:27], off, off offset:436 ; 16-byte Folded Reload
	scratch_load_dwordx4 v[28:31], off, off offset:452 ; 16-byte Folded Reload
	scratch_load_dwordx4 v[32:35], off, off offset:468 ; 16-byte Folded Reload
	scratch_load_dwordx4 v[36:39], off, off offset:484 ; 16-byte Folded Reload
	v_cndmask_b32_e64 v7, v7, v59, s[14:15]
	s_waitcnt vmcnt(4)
	v_mov_b32_e32 v49, v23
	scratch_load_dwordx4 v[8:11], off, off offset:244 ; 16-byte Folded Reload
	scratch_load_dwordx4 v[12:15], off, off offset:260 ; 16-byte Folded Reload
	scratch_load_dwordx4 v[16:19], off, off offset:276 ; 16-byte Folded Reload
	scratch_load_dwordx4 v[20:23], off, off offset:292 ; 16-byte Folded Reload
	scratch_load_dwordx4 v[24:27], off, off offset:308 ; 16-byte Folded Reload
	scratch_load_dwordx4 v[28:31], off, off offset:324 ; 16-byte Folded Reload
	scratch_load_dwordx4 v[32:35], off, off offset:340 ; 16-byte Folded Reload
	scratch_load_dwordx4 v[36:39], off, off offset:356 ; 16-byte Folded Reload
	v_cndmask_b32_e64 v7, v7, v49, s[16:17]
	s_waitcnt vmcnt(5)
	v_mov_b32_e32 v70, v18
	scratch_load_dwordx4 v[8:11], off, off offset:628 ; 16-byte Folded Reload
	scratch_load_dwordx4 v[12:15], off, off offset:644 ; 16-byte Folded Reload
	scratch_load_dwordx4 v[16:19], off, off offset:660 ; 16-byte Folded Reload
	scratch_load_dwordx4 v[20:23], off, off offset:676 ; 16-byte Folded Reload
	scratch_load_dwordx4 v[24:27], off, off offset:692 ; 16-byte Folded Reload
	scratch_load_dwordx4 v[28:31], off, off offset:708 ; 16-byte Folded Reload
	scratch_load_dwordx4 v[32:35], off, off offset:724 ; 16-byte Folded Reload
	scratch_load_dwordx4 v[36:39], off, off offset:740 ; 16-byte Folded Reload
	v_cndmask_b32_e64 v56, v56, v70, s[12:13]
	v_cmp_eq_u32_e64 s[12:13], 5, v80
	s_waitcnt vmcnt(4)
	v_mov_b32_e32 v60, v20
	scratch_load_dwordx4 v[8:11], off, off offset:3956 ; 16-byte Folded Reload
	scratch_load_dwordx4 v[12:15], off, off offset:3972 ; 16-byte Folded Reload
	;; [unrolled: 1-line block ×8, first 2 shown]
	v_cndmask_b32_e64 v56, v56, v60, s[14:15]
	v_cmp_eq_u32_e64 s[14:15], 6, v80
	s_waitcnt vmcnt(4)
	v_mov_b32_e32 v58, v22
	scratch_load_dwordx4 v[8:11], off, s4   ; 16-byte Folded Reload
	scratch_load_dwordx4 v[12:15], off, s4 offset:16 ; 16-byte Folded Reload
	scratch_load_dwordx4 v[16:19], off, s4 offset:32 ; 16-byte Folded Reload
	;; [unrolled: 1-line block ×7, first 2 shown]
	s_movk_i32 s4, 0x10f4
	v_cndmask_b32_e64 v56, v56, v58, s[16:17]
	v_cmp_eq_u32_e64 s[16:17], 7, v80
	s_waitcnt vmcnt(1)
	v_mov_b32_e32 v33, v25
	v_cndmask_b32_e64 v57, v7, v33, s[18:19]
	scratch_load_dwordx4 v[0:3], off, s4    ; 16-byte Folded Reload
	scratch_load_dwordx4 v[4:7], off, s4 offset:16 ; 16-byte Folded Reload
	scratch_load_dwordx4 v[8:11], off, s4 offset:32 ; 16-byte Folded Reload
	;; [unrolled: 1-line block ×7, first 2 shown]
	s_waitcnt vmcnt(6)
	v_cndmask_b32_e64 v7, v159, v165, s[20:21]
	v_cndmask_b32_e64 v7, v7, v163, s[22:23]
	s_waitcnt vmcnt(4)
	v_cndmask_b32_e64 v14, v158, v164, s[20:21]
	v_cndmask_b32_e64 v7, v7, v77, s[24:25]
	;; [unrolled: 1-line block ×13, first 2 shown]
	v_lshlrev_b32_e32 v7, 2, v102
	v_mov_b32_e32 v10, 16
	v_add3_u32 v7, v10, v7, 40
	v_cmp_eq_u32_e64 s[4:5], 2, v102
	v_cmp_eq_u32_e64 s[24:25], 1, v102
	;; [unrolled: 1-line block ×3, first 2 shown]
	v_cndmask_b32_e64 v86, v106, v72, s[4:5]
	v_cndmask_b32_e64 v90, v107, v73, s[4:5]
	;; [unrolled: 1-line block ×7, first 2 shown]
	v_cmp_eq_u32_e64 s[20:21], 1, v101
	v_cmp_eq_u32_e64 s[22:23], 2, v101
	;; [unrolled: 1-line block ×3, first 2 shown]
	v_cndmask_b32_e64 v8, v92, v91, s[20:21]
	v_cndmask_b32_e64 v8, v8, v90, s[22:23]
	;; [unrolled: 1-line block ×3, first 2 shown]
	v_cmp_eq_u32_e64 s[30:31], 4, v101
	v_cndmask_b32_e64 v94, v115, v65, s[24:25]
	v_cndmask_b32_e64 v95, v105, v65, s[28:29]
	;; [unrolled: 1-line block ×7, first 2 shown]
	s_waitcnt vmcnt(3)
	v_cndmask_b32_e64 v56, v56, v16, s[18:19]
	v_mul_f64 v[78:79], v[56:57], v[68:69]
	v_cndmask_b32_e64 v14, v14, v16, s[38:39]
	v_fmac_f64_e32 v[78:79], v[14:15], v[66:67]
	scratch_load_dword v14, v7, off
	v_cndmask_b32_e64 v68, v110, v62, s[4:5]
	v_cndmask_b32_e64 v34, v162, v78, s[4:5]
	;; [unrolled: 1-line block ×3, first 2 shown]
	v_cmp_eq_u32_e64 s[4:5], 1, v80
	v_cndmask_b32_e64 v56, v58, v78, s[42:43]
	v_cndmask_b32_e64 v58, v71, v79, s[46:47]
	;; [unrolled: 1-line block ×11, first 2 shown]
	v_cmp_eq_u32_e64 s[36:37], 5, v101
	v_cndmask_b32_e64 v57, v16, v78, s[40:41]
	v_cndmask_b32_e64 v61, v33, v79, s[40:41]
	;; [unrolled: 1-line block ×4, first 2 shown]
	v_cmp_eq_u32_e64 s[40:41], 6, v101
	v_cndmask_b32_e64 v15, v60, v78, s[44:45]
	v_cndmask_b32_e64 v60, v49, v79, s[42:43]
	;; [unrolled: 1-line block ×4, first 2 shown]
	v_cmp_eq_u32_e64 s[42:43], 7, v101
	v_cndmask_b32_e64 v59, v59, v79, s[44:45]
	v_cndmask_b32_e64 v0, v0, v126, s[16:17]
	v_cmp_eq_u32_e64 s[18:19], 8, v80
	v_cndmask_b32_e64 v8, v8, v126, s[42:43]
	v_cmp_eq_u32_e64 s[44:45], 8, v101
	v_cndmask_b32_e64 v12, v70, v78, s[46:47]
	v_cndmask_b32_e64 v70, v161, v63, s[28:29]
	v_cndmask_b32_e64 v11, v8, v127, s[44:45]
	v_cndmask_b32_e64 v8, v89, v87, s[20:21]
	v_cndmask_b32_e64 v8, v8, v86, s[22:23]
	v_cndmask_b32_e64 v8, v8, v85, s[26:27]
	v_cndmask_b32_e64 v8, v8, v75, s[30:31]
	v_cndmask_b32_e64 v8, v8, v123, s[36:37]
	v_cndmask_b32_e64 v8, v8, v122, s[40:41]
	v_cndmask_b32_e64 v8, v8, v119, s[42:43]
	v_cndmask_b32_e32 v63, v120, v78, vcc
	v_cndmask_b32_e64 v17, v164, v78, s[24:25]
	v_cndmask_b32_e64 v16, v158, v78, s[28:29]
	v_cndmask_b32_e32 v66, v121, v79, vcc
	v_cndmask_b32_e64 v98, v165, v79, s[24:25]
	v_cndmask_b32_e64 v99, v159, v79, s[28:29]
	s_waitcnt vmcnt(0)
	v_lshlrev_b32_e32 v7, 2, v14
	v_add3_u32 v7, v10, v7, 40
	scratch_load_dword v82, v7, off
	v_cndmask_b32_e64 v7, v0, v127, s[18:19]
	v_cndmask_b32_e64 v0, v89, v87, s[4:5]
	v_cndmask_b32_e64 v0, v0, v86, s[6:7]
	v_cndmask_b32_e64 v0, v0, v85, s[8:9]
	v_cndmask_b32_e64 v0, v0, v75, s[10:11]
	v_cndmask_b32_e64 v0, v0, v123, s[12:13]
	v_cndmask_b32_e64 v0, v0, v122, s[14:15]
	v_cndmask_b32_e64 v0, v0, v119, s[16:17]
	v_cndmask_b32_e64 v6, v0, v118, s[18:19]
	v_cndmask_b32_e64 v10, v8, v118, s[44:45]
	v_add_f64 v[0:1], -v[6:7], 0
	v_add_f64 v[8:9], v[10:11], -v[6:7]
	v_div_scale_f64 v[76:77], s[34:35], v[8:9], v[8:9], v[0:1]
	v_rcp_f64_e32 v[80:81], v[76:77]
	v_cmp_eq_u32_e64 s[24:25], 3, v14
	v_fma_f64 v[78:79], -v[76:77], v[80:81], 1.0
	v_fmac_f64_e32 v[80:81], v[80:81], v[78:79]
	v_fma_f64 v[78:79], -v[76:77], v[80:81], 1.0
	v_fmac_f64_e32 v[80:81], v[80:81], v[78:79]
	v_div_scale_f64 v[78:79], vcc, v[0:1], v[8:9], v[0:1]
	s_waitcnt vmcnt(0)
	scratch_store_dword off, v82, off offset:100
	v_mul_f64 v[82:83], v[78:79], v[80:81]
	v_fma_f64 v[76:77], -v[76:77], v[82:83], v[78:79]
	v_div_fmas_f64 v[76:77], v[76:77], v[80:81], v[82:83]
	v_div_fixup_f64 v[0:1], v[76:77], v[8:9], v[0:1]
	v_add_f64 v[8:9], -v[0:1], 1.0
	v_mul_f64 v[6:7], v[6:7], v[8:9]
	v_fmac_f64_e32 v[6:7], v[10:11], v[0:1]
	v_cmp_eq_u32_e32 vcc, 4, v14
	v_cndmask_b32_e64 v11, v88, v7, s[24:25]
	v_cndmask_b32_e64 v10, v85, v6, s[24:25]
	v_cndmask_b32_e32 v117, v84, v7, vcc
	v_cndmask_b32_e32 v116, v75, v6, vcc
	scratch_store_dwordx4 off, v[4:7], off offset:756 ; 16-byte Folded Spill
	s_nop 0
	scratch_store_dwordx4 off, v[8:11], off offset:772 ; 16-byte Folded Spill
	scratch_store_dwordx4 off, v[12:15], off offset:788 ; 16-byte Folded Spill
	;; [unrolled: 1-line block ×7, first 2 shown]
	v_cndmask_b32_e64 v10, v95, v94, s[20:21]
	v_cndmask_b32_e64 v10, v10, v93, s[22:23]
	;; [unrolled: 1-line block ×39, first 2 shown]
	v_mul_f64 v[10:11], v[10:11], v[8:9]
	v_fmac_f64_e32 v[10:11], v[76:77], v[0:1]
	v_cndmask_b32_e64 v77, v75, v52, s[44:45]
	v_cndmask_b32_e64 v75, v65, v67, s[20:21]
	;; [unrolled: 1-line block ×31, first 2 shown]
	v_mul_f64 v[78:79], v[78:79], v[8:9]
	v_cndmask_b32_e64 v75, v75, v60, s[42:43]
	v_fmac_f64_e32 v[78:79], v[76:77], v[0:1]
	v_cndmask_b32_e64 v77, v75, v61, s[44:45]
	v_cndmask_b32_e64 v75, v16, v17, s[20:21]
	;; [unrolled: 1-line block ×22, first 2 shown]
	v_cndmask_b32_e32 v19, v53, v11, vcc
	v_cndmask_b32_e32 v18, v96, v10, vcc
	v_cmp_eq_u32_e64 s[28:29], 2, v14
	v_cmp_eq_u32_e64 s[34:35], 1, v14
	;; [unrolled: 1-line block ×3, first 2 shown]
	v_cndmask_b32_e64 v75, v75, v15, s[14:15]
	scratch_store_dwordx4 off, v[10:13], off offset:1396 ; 16-byte Folded Spill
	s_nop 0
	scratch_store_dwordx4 off, v[14:17], off offset:1412 ; 16-byte Folded Spill
	scratch_store_dwordx4 off, v[18:21], off offset:1428 ; 16-byte Folded Spill
	;; [unrolled: 1-line block ×7, first 2 shown]
	v_cndmask_b32_e64 v75, v75, v56, s[16:17]
	s_movk_i32 s4, 0x1074
	v_cndmask_b32_e64 v80, v75, v57, s[18:19]
	v_mul_f64 v[8:9], v[80:81], v[8:9]
	v_fmac_f64_e32 v[8:9], v[76:77], v[0:1]
	v_cndmask_b32_e64 v107, v90, v7, s[28:29]
	v_cndmask_b32_e64 v106, v86, v6, s[28:29]
	;; [unrolled: 1-line block ×8, first 2 shown]
	s_movk_i32 s10, 0x1174
	v_cndmask_b32_e64 v129, v43, v79, s[24:25]
	v_cndmask_b32_e64 v128, v42, v78, s[24:25]
	;; [unrolled: 1-line block ×4, first 2 shown]
	scratch_store_dwordx4 off, v[44:47], s4 ; 16-byte Folded Spill
	s_nop 0
	scratch_store_dwordx4 off, v[48:51], s4 offset:16 ; 16-byte Folded Spill
	scratch_store_dwordx4 off, v[52:55], s4 offset:32 ; 16-byte Folded Spill
	;; [unrolled: 1-line block ×7, first 2 shown]
	v_cmp_eq_u32_e64 s[8:9], 8, v14
	v_cndmask_b32_e64 v164, v17, v8, s[34:35]
	v_cndmask_b32_e64 v113, v93, v11, s[28:29]
	v_cndmask_b32_e64 v17, v127, v7, s[8:9]
	v_cndmask_b32_e64 v115, v94, v11, s[34:35]
	v_cndmask_b32_e64 v105, v95, v11, s[38:39]
	v_cndmask_b32_e64 v163, v35, v9, s[28:29]
	v_cndmask_b32_e64 v162, v34, v8, s[28:29]
	v_cndmask_b32_e64 v158, v16, v8, s[38:39]
	v_cmp_eq_u32_e64 s[4:5], 6, v14
	v_cmp_eq_u32_e64 s[6:7], 5, v14
	v_cndmask_b32_e64 v112, v73, v10, s[28:29]
	v_cndmask_b32_e64 v114, v71, v10, s[34:35]
	;; [unrolled: 1-line block ×3, first 2 shown]
	v_cndmask_b32_e32 v87, v55, v79, vcc
	v_cndmask_b32_e32 v86, v54, v78, vcc
	;; [unrolled: 1-line block ×4, first 2 shown]
	v_cndmask_b32_e64 v77, v64, v9, s[24:25]
	v_cndmask_b32_e64 v76, v62, v8, s[24:25]
	v_cmp_eq_u32_e32 vcc, 7, v14
	scratch_store_dwordx4 off, v[0:3], off offset:2932 ; 16-byte Folded Spill
	s_nop 0
	scratch_store_dwordx4 off, v[4:7], off offset:2948 ; 16-byte Folded Spill
	scratch_store_dwordx4 off, v[8:11], off offset:2964 ; 16-byte Folded Spill
	;; [unrolled: 1-line block ×7, first 2 shown]
	v_cndmask_b32_e64 v111, v74, v79, s[28:29]
	v_cndmask_b32_e64 v110, v68, v78, s[28:29]
	;; [unrolled: 1-line block ×7, first 2 shown]
	scratch_store_dwordx4 off, v[0:3], off offset:3444 ; 16-byte Folded Spill
	s_nop 0
	scratch_store_dwordx4 off, v[4:7], off offset:3460 ; 16-byte Folded Spill
	scratch_store_dwordx4 off, v[8:11], off offset:3476 ; 16-byte Folded Spill
	;; [unrolled: 1-line block ×7, first 2 shown]
	v_cndmask_b32_e32 v17, v126, v7, vcc
	scratch_store_dwordx4 off, v[2:5], off offset:3060 ; 16-byte Folded Spill
	s_nop 0
	scratch_store_dwordx4 off, v[6:9], off offset:3076 ; 16-byte Folded Spill
	scratch_store_dwordx4 off, v[10:13], off offset:3092 ; 16-byte Folded Spill
	;; [unrolled: 1-line block ×7, first 2 shown]
	v_cndmask_b32_e32 v16, v119, v6, vcc
	scratch_store_dwordx4 off, v[2:5], off offset:3572 ; 16-byte Folded Spill
	s_nop 0
	scratch_store_dwordx4 off, v[6:9], off offset:3588 ; 16-byte Folded Spill
	scratch_store_dwordx4 off, v[10:13], off offset:3604 ; 16-byte Folded Spill
	scratch_store_dwordx4 off, v[14:17], off offset:3620 ; 16-byte Folded Spill
	scratch_store_dwordx4 off, v[18:21], off offset:3636 ; 16-byte Folded Spill
	scratch_store_dwordx4 off, v[22:25], off offset:3652 ; 16-byte Folded Spill
	scratch_store_dwordx4 off, v[26:29], off offset:3668 ; 16-byte Folded Spill
	scratch_store_dwordx4 off, v[30:33], off offset:3684 ; 16-byte Folded Spill
	v_cndmask_b32_e64 v13, v125, v7, s[4:5]
	scratch_store_dwordx4 off, v[0:3], off offset:3188 ; 16-byte Folded Spill
	s_nop 0
	scratch_store_dwordx4 off, v[4:7], off offset:3204 ; 16-byte Folded Spill
	scratch_store_dwordx4 off, v[8:11], off offset:3220 ; 16-byte Folded Spill
	scratch_store_dwordx4 off, v[12:15], off offset:3236 ; 16-byte Folded Spill
	scratch_store_dwordx4 off, v[16:19], off offset:3252 ; 16-byte Folded Spill
	scratch_store_dwordx4 off, v[20:23], off offset:3268 ; 16-byte Folded Spill
	scratch_store_dwordx4 off, v[24:27], off offset:3284 ; 16-byte Folded Spill
	scratch_store_dwordx4 off, v[28:31], off offset:3300 ; 16-byte Folded Spill
	v_cndmask_b32_e64 v16, v122, v6, s[4:5]
	scratch_store_dwordx4 off, v[4:7], off offset:3700 ; 16-byte Folded Spill
	s_nop 0
	scratch_store_dwordx4 off, v[8:11], off offset:3716 ; 16-byte Folded Spill
	scratch_store_dwordx4 off, v[12:15], off offset:3732 ; 16-byte Folded Spill
	scratch_store_dwordx4 off, v[16:19], off offset:3748 ; 16-byte Folded Spill
	scratch_store_dwordx4 off, v[20:23], off offset:3764 ; 16-byte Folded Spill
	scratch_store_dwordx4 off, v[24:27], off offset:3780 ; 16-byte Folded Spill
	scratch_store_dwordx4 off, v[28:31], off offset:3796 ; 16-byte Folded Spill
	scratch_store_dwordx4 off, v[32:35], off offset:3812 ; 16-byte Folded Spill
	v_cndmask_b32_e64 v13, v124, v7, s[6:7]
	scratch_store_dwordx4 off, v[2:5], off offset:3316 ; 16-byte Folded Spill
	s_nop 0
	scratch_store_dwordx4 off, v[6:9], off offset:3332 ; 16-byte Folded Spill
	scratch_store_dwordx4 off, v[10:13], off offset:3348 ; 16-byte Folded Spill
	scratch_store_dwordx4 off, v[14:17], off offset:3364 ; 16-byte Folded Spill
	scratch_store_dwordx4 off, v[18:21], off offset:3380 ; 16-byte Folded Spill
	scratch_store_dwordx4 off, v[22:25], off offset:3396 ; 16-byte Folded Spill
	scratch_store_dwordx4 off, v[26:29], off offset:3412 ; 16-byte Folded Spill
	scratch_store_dwordx4 off, v[30:33], off offset:3428 ; 16-byte Folded Spill
	v_cndmask_b32_e64 v16, v123, v6, s[6:7]
	scratch_store_dwordx4 off, v[6:9], off offset:3828 ; 16-byte Folded Spill
	s_nop 0
	scratch_store_dwordx4 off, v[10:13], off offset:3844 ; 16-byte Folded Spill
	scratch_store_dwordx4 off, v[14:17], off offset:3860 ; 16-byte Folded Spill
	scratch_store_dwordx4 off, v[18:21], off offset:3876 ; 16-byte Folded Spill
	scratch_store_dwordx4 off, v[22:25], off offset:3892 ; 16-byte Folded Spill
	scratch_store_dwordx4 off, v[26:29], off offset:3908 ; 16-byte Folded Spill
	scratch_store_dwordx4 off, v[30:33], off offset:3924 ; 16-byte Folded Spill
	scratch_store_dwordx4 off, v[34:37], off offset:3940 ; 16-byte Folded Spill
	v_cndmask_b32_e64 v17, v137, v11, s[8:9]
	scratch_store_dwordx4 off, v[0:3], off offset:1908 ; 16-byte Folded Spill
	s_nop 0
	scratch_store_dwordx4 off, v[4:7], off offset:1924 ; 16-byte Folded Spill
	scratch_store_dwordx4 off, v[8:11], off offset:1940 ; 16-byte Folded Spill
	scratch_store_dwordx4 off, v[12:15], off offset:1956 ; 16-byte Folded Spill
	scratch_store_dwordx4 off, v[16:19], off offset:1972 ; 16-byte Folded Spill
	scratch_store_dwordx4 off, v[20:23], off offset:1988 ; 16-byte Folded Spill
	scratch_store_dwordx4 off, v[24:27], off offset:2004 ; 16-byte Folded Spill
	scratch_store_dwordx4 off, v[28:31], off offset:2020 ; 16-byte Folded Spill
	v_cndmask_b32_e64 v16, v133, v10, s[8:9]
	scratch_store_dwordx4 off, v[0:3], off offset:2420 ; 16-byte Folded Spill
	s_nop 0
	scratch_store_dwordx4 off, v[4:7], off offset:2436 ; 16-byte Folded Spill
	scratch_store_dwordx4 off, v[8:11], off offset:2452 ; 16-byte Folded Spill
	;; [unrolled: 1-line block ×7, first 2 shown]
	v_cndmask_b32_e32 v17, v136, v11, vcc
	scratch_store_dwordx4 off, v[2:5], off offset:2036 ; 16-byte Folded Spill
	s_nop 0
	scratch_store_dwordx4 off, v[6:9], off offset:2052 ; 16-byte Folded Spill
	scratch_store_dwordx4 off, v[10:13], off offset:2068 ; 16-byte Folded Spill
	;; [unrolled: 1-line block ×7, first 2 shown]
	v_cndmask_b32_e32 v16, v132, v10, vcc
	scratch_store_dwordx4 off, v[2:5], off offset:2548 ; 16-byte Folded Spill
	s_nop 0
	scratch_store_dwordx4 off, v[6:9], off offset:2564 ; 16-byte Folded Spill
	scratch_store_dwordx4 off, v[10:13], off offset:2580 ; 16-byte Folded Spill
	scratch_store_dwordx4 off, v[14:17], off offset:2596 ; 16-byte Folded Spill
	scratch_store_dwordx4 off, v[18:21], off offset:2612 ; 16-byte Folded Spill
	scratch_store_dwordx4 off, v[22:25], off offset:2628 ; 16-byte Folded Spill
	scratch_store_dwordx4 off, v[26:29], off offset:2644 ; 16-byte Folded Spill
	scratch_store_dwordx4 off, v[30:33], off offset:2660 ; 16-byte Folded Spill
	v_cndmask_b32_e64 v13, v135, v11, s[4:5]
	scratch_store_dwordx4 off, v[0:3], off offset:2164 ; 16-byte Folded Spill
	s_nop 0
	scratch_store_dwordx4 off, v[4:7], off offset:2180 ; 16-byte Folded Spill
	scratch_store_dwordx4 off, v[8:11], off offset:2196 ; 16-byte Folded Spill
	scratch_store_dwordx4 off, v[12:15], off offset:2212 ; 16-byte Folded Spill
	scratch_store_dwordx4 off, v[16:19], off offset:2228 ; 16-byte Folded Spill
	scratch_store_dwordx4 off, v[20:23], off offset:2244 ; 16-byte Folded Spill
	scratch_store_dwordx4 off, v[24:27], off offset:2260 ; 16-byte Folded Spill
	scratch_store_dwordx4 off, v[28:31], off offset:2276 ; 16-byte Folded Spill
	v_cndmask_b32_e64 v16, v131, v10, s[4:5]
	scratch_store_dwordx4 off, v[4:7], off offset:2676 ; 16-byte Folded Spill
	s_nop 0
	scratch_store_dwordx4 off, v[8:11], off offset:2692 ; 16-byte Folded Spill
	scratch_store_dwordx4 off, v[12:15], off offset:2708 ; 16-byte Folded Spill
	scratch_store_dwordx4 off, v[16:19], off offset:2724 ; 16-byte Folded Spill
	scratch_store_dwordx4 off, v[20:23], off offset:2740 ; 16-byte Folded Spill
	scratch_store_dwordx4 off, v[24:27], off offset:2756 ; 16-byte Folded Spill
	scratch_store_dwordx4 off, v[28:31], off offset:2772 ; 16-byte Folded Spill
	scratch_store_dwordx4 off, v[32:35], off offset:2788 ; 16-byte Folded Spill
	v_cndmask_b32_e64 v11, v134, v11, s[6:7]
	scratch_store_dwordx4 off, v[0:3], off offset:2292 ; 16-byte Folded Spill
	s_nop 0
	scratch_store_dwordx4 off, v[4:7], off offset:2308 ; 16-byte Folded Spill
	scratch_store_dwordx4 off, v[8:11], off offset:2324 ; 16-byte Folded Spill
	scratch_store_dwordx4 off, v[12:15], off offset:2340 ; 16-byte Folded Spill
	scratch_store_dwordx4 off, v[16:19], off offset:2356 ; 16-byte Folded Spill
	scratch_store_dwordx4 off, v[20:23], off offset:2372 ; 16-byte Folded Spill
	scratch_store_dwordx4 off, v[24:27], off offset:2388 ; 16-byte Folded Spill
	scratch_store_dwordx4 off, v[28:31], off offset:2404 ; 16-byte Folded Spill
	v_cndmask_b32_e64 v10, v130, v10, s[6:7]
	scratch_store_dwordx4 off, v[0:3], off offset:2804 ; 16-byte Folded Spill
	s_nop 0
	scratch_store_dwordx4 off, v[4:7], off offset:2820 ; 16-byte Folded Spill
	scratch_store_dwordx4 off, v[8:11], off offset:2836 ; 16-byte Folded Spill
	scratch_store_dwordx4 off, v[12:15], off offset:2852 ; 16-byte Folded Spill
	scratch_store_dwordx4 off, v[16:19], off offset:2868 ; 16-byte Folded Spill
	scratch_store_dwordx4 off, v[20:23], off offset:2884 ; 16-byte Folded Spill
	scratch_store_dwordx4 off, v[24:27], off offset:2900 ; 16-byte Folded Spill
	scratch_store_dwordx4 off, v[28:31], off offset:2916 ; 16-byte Folded Spill
	v_cndmask_b32_e64 v17, v52, v79, s[8:9]
	scratch_store_dwordx4 off, v[0:3], s10  ; 16-byte Folded Spill
	s_nop 0
	scratch_store_dwordx4 off, v[4:7], s10 offset:16 ; 16-byte Folded Spill
	scratch_store_dwordx4 off, v[8:11], s10 offset:32 ; 16-byte Folded Spill
	;; [unrolled: 1-line block ×7, first 2 shown]
	v_cndmask_b32_e64 v16, v45, v78, s[8:9]
	scratch_store_dwordx4 off, v[0:3], off offset:1268 ; 16-byte Folded Spill
	s_nop 0
	scratch_store_dwordx4 off, v[4:7], off offset:1284 ; 16-byte Folded Spill
	scratch_store_dwordx4 off, v[8:11], off offset:1300 ; 16-byte Folded Spill
	scratch_store_dwordx4 off, v[12:15], off offset:1316 ; 16-byte Folded Spill
	scratch_store_dwordx4 off, v[16:19], off offset:1332 ; 16-byte Folded Spill
	scratch_store_dwordx4 off, v[20:23], off offset:1348 ; 16-byte Folded Spill
	scratch_store_dwordx4 off, v[24:27], off offset:1364 ; 16-byte Folded Spill
	scratch_store_dwordx4 off, v[28:31], off offset:1380 ; 16-byte Folded Spill
	v_cndmask_b32_e32 v17, v48, v79, vcc
	scratch_store_dwordx4 off, v[2:5], off offset:884 ; 16-byte Folded Spill
	s_nop 0
	scratch_store_dwordx4 off, v[6:9], off offset:900 ; 16-byte Folded Spill
	scratch_store_dwordx4 off, v[10:13], off offset:916 ; 16-byte Folded Spill
	;; [unrolled: 1-line block ×7, first 2 shown]
	v_cndmask_b32_e32 v16, v44, v78, vcc
	scratch_store_dwordx4 off, v[2:5], off offset:1524 ; 16-byte Folded Spill
	s_nop 0
	scratch_store_dwordx4 off, v[6:9], off offset:1540 ; 16-byte Folded Spill
	scratch_store_dwordx4 off, v[10:13], off offset:1556 ; 16-byte Folded Spill
	scratch_store_dwordx4 off, v[14:17], off offset:1572 ; 16-byte Folded Spill
	scratch_store_dwordx4 off, v[18:21], off offset:1588 ; 16-byte Folded Spill
	scratch_store_dwordx4 off, v[22:25], off offset:1604 ; 16-byte Folded Spill
	scratch_store_dwordx4 off, v[26:29], off offset:1620 ; 16-byte Folded Spill
	scratch_store_dwordx4 off, v[30:33], off offset:1636 ; 16-byte Folded Spill
	v_cndmask_b32_e64 v17, v47, v79, s[4:5]
	scratch_store_dwordx4 off, v[4:7], off offset:1012 ; 16-byte Folded Spill
	s_nop 0
	scratch_store_dwordx4 off, v[8:11], off offset:1028 ; 16-byte Folded Spill
	scratch_store_dwordx4 off, v[12:15], off offset:1044 ; 16-byte Folded Spill
	scratch_store_dwordx4 off, v[16:19], off offset:1060 ; 16-byte Folded Spill
	scratch_store_dwordx4 off, v[20:23], off offset:1076 ; 16-byte Folded Spill
	scratch_store_dwordx4 off, v[24:27], off offset:1092 ; 16-byte Folded Spill
	scratch_store_dwordx4 off, v[28:31], off offset:1108 ; 16-byte Folded Spill
	scratch_store_dwordx4 off, v[32:35], off offset:1124 ; 16-byte Folded Spill
	v_cndmask_b32_e64 v16, v41, v78, s[4:5]
	;; [unrolled: 10-line block ×4, first 2 shown]
	scratch_store_dwordx4 off, v[0:3], off offset:1780 ; 16-byte Folded Spill
	s_nop 0
	scratch_store_dwordx4 off, v[4:7], off offset:1796 ; 16-byte Folded Spill
	scratch_store_dwordx4 off, v[8:11], off offset:1812 ; 16-byte Folded Spill
	;; [unrolled: 1-line block ×7, first 2 shown]
	s_movk_i32 s10, 0xff4
	v_cndmask_b32_e64 v17, v61, v9, s[8:9]
	scratch_store_dwordx4 off, v[0:3], s10  ; 16-byte Folded Spill
	s_nop 0
	scratch_store_dwordx4 off, v[4:7], s10 offset:16 ; 16-byte Folded Spill
	scratch_store_dwordx4 off, v[8:11], s10 offset:32 ; 16-byte Folded Spill
	;; [unrolled: 1-line block ×7, first 2 shown]
	v_cndmask_b32_e64 v16, v57, v8, s[8:9]
	s_movk_i32 s8, 0x10f4
	scratch_store_dwordx4 off, v[0:3], s8   ; 16-byte Folded Spill
	s_nop 0
	scratch_store_dwordx4 off, v[4:7], s8 offset:16 ; 16-byte Folded Spill
	scratch_store_dwordx4 off, v[8:11], s8 offset:32 ; 16-byte Folded Spill
	;; [unrolled: 1-line block ×7, first 2 shown]
	v_cndmask_b32_e32 v17, v60, v9, vcc
	scratch_store_dwordx4 off, v[2:5], off offset:372 ; 16-byte Folded Spill
	s_nop 0
	scratch_store_dwordx4 off, v[6:9], off offset:388 ; 16-byte Folded Spill
	scratch_store_dwordx4 off, v[10:13], off offset:404 ; 16-byte Folded Spill
	;; [unrolled: 1-line block ×7, first 2 shown]
	v_cndmask_b32_e32 v16, v56, v8, vcc
	scratch_store_dwordx4 off, v[2:5], off offset:3956 ; 16-byte Folded Spill
	s_nop 0
	scratch_store_dwordx4 off, v[6:9], off offset:3972 ; 16-byte Folded Spill
	scratch_store_dwordx4 off, v[10:13], off offset:3988 ; 16-byte Folded Spill
	scratch_store_dwordx4 off, v[14:17], off offset:4004 ; 16-byte Folded Spill
	scratch_store_dwordx4 off, v[18:21], off offset:4020 ; 16-byte Folded Spill
	scratch_store_dwordx4 off, v[22:25], off offset:4036 ; 16-byte Folded Spill
	scratch_store_dwordx4 off, v[26:29], off offset:4052 ; 16-byte Folded Spill
	scratch_store_dwordx4 off, v[30:33], off offset:4068 ; 16-byte Folded Spill
	v_cndmask_b32_e64 v13, v59, v9, s[4:5]
	scratch_store_dwordx4 off, v[0:3], off offset:500 ; 16-byte Folded Spill
	s_nop 0
	scratch_store_dwordx4 off, v[4:7], off offset:516 ; 16-byte Folded Spill
	scratch_store_dwordx4 off, v[8:11], off offset:532 ; 16-byte Folded Spill
	scratch_store_dwordx4 off, v[12:15], off offset:548 ; 16-byte Folded Spill
	scratch_store_dwordx4 off, v[16:19], off offset:564 ; 16-byte Folded Spill
	scratch_store_dwordx4 off, v[20:23], off offset:580 ; 16-byte Folded Spill
	scratch_store_dwordx4 off, v[24:27], off offset:596 ; 16-byte Folded Spill
	scratch_store_dwordx4 off, v[28:31], off offset:612 ; 16-byte Folded Spill
	v_cndmask_b32_e64 v16, v15, v8, s[4:5]
	;; [unrolled: 10-line block ×4, first 2 shown]
	scratch_store_dwordx4 off, v[0:3], off offset:244 ; 16-byte Folded Spill
	s_nop 0
	scratch_store_dwordx4 off, v[4:7], off offset:260 ; 16-byte Folded Spill
	scratch_store_dwordx4 off, v[8:11], off offset:276 ; 16-byte Folded Spill
	;; [unrolled: 1-line block ×7, first 2 shown]
.LBB0_21:
	s_or_b64 exec, exec, s[54:55]
	s_mov_b64 s[4:5], 0
	scratch_store_dword off, v103, off offset:96
	s_mov_b64 s[16:17], exec
	s_movk_i32 s6, 0x1074
	scratch_load_dword v15, off, off offset:112 ; 4-byte Folded Reload
	scratch_load_dwordx4 v[44:47], off, s6  ; 16-byte Folded Reload
	scratch_load_dwordx4 v[48:51], off, s6 offset:16 ; 16-byte Folded Reload
	scratch_load_dwordx4 v[52:55], off, s6 offset:32 ; 16-byte Folded Reload
	;; [unrolled: 1-line block ×7, first 2 shown]
	s_and_b64 s[0:1], s[16:17], s[0:1]
	s_waitcnt vmcnt(6)
	v_mov_b64_e32 v[90:91], v[50:51]
	s_mov_b64 exec, s[0:1]
	s_cbranch_execz .LBB0_31
; %bb.22:
	s_mov_b64 s[18:19], 0
	v_cmp_gt_f64_e32 vcc, 0, v[140:141]
	s_branch .LBB0_24
.LBB0_23:                               ;   in Loop: Header=BB0_24 Depth=1
	s_or_b64 exec, exec, s[0:1]
	v_cmp_gt_i32_e64 s[0:1], 0, v4
	s_or_b64 s[18:19], s[0:1], s[18:19]
	v_mov_b32_e32 v142, v4
	s_andn2_b64 exec, exec, s[18:19]
	s_cbranch_execz .LBB0_30
.LBB0_24:                               ; =>This Inner Loop Header: Depth=1
	scratch_load_dwordx4 v[44:47], off, off offset:756 ; 16-byte Folded Reload
	scratch_load_dwordx4 v[48:51], off, off offset:772 ; 16-byte Folded Reload
	;; [unrolled: 1-line block ×16, first 2 shown]
	v_cmp_eq_u32_e64 s[0:1], 1, v142
	v_cmp_eq_u32_e64 s[4:5], 2, v142
	;; [unrolled: 1-line block ×3, first 2 shown]
	v_cndmask_b32_e64 v4, v147, v109, s[0:1]
	v_cndmask_b32_e64 v4, v4, v107, s[4:5]
	v_cmp_eq_u32_e64 s[8:9], 4, v142
	v_mov_b64_e32 v[8:9], v[116:117]
	v_cmp_eq_u32_e64 s[10:11], 5, v142
	v_cmp_eq_u32_e64 s[12:13], 6, v142
	;; [unrolled: 1-line block ×3, first 2 shown]
	v_cndmask_b32_e64 v5, v146, v108, s[0:1]
	v_cndmask_b32_e64 v5, v5, v106, s[4:5]
	v_cmp_eq_u32_e64 s[0:1], 8, v142
	s_mov_b64 s[4:5], 0
	s_waitcnt vmcnt(14)
	v_mov_b64_e32 v[6:7], v[50:51]
	v_cndmask_b32_e64 v4, v4, v7, s[6:7]
	v_cndmask_b32_e64 v4, v4, v9, s[8:9]
	s_waitcnt vmcnt(5)
	v_cndmask_b32_e64 v4, v4, v27, s[10:11]
	scratch_load_dwordx4 v[16:19], off, off offset:3188 ; 16-byte Folded Reload
	scratch_load_dwordx4 v[20:23], off, off offset:3204 ; 16-byte Folded Reload
	;; [unrolled: 1-line block ×8, first 2 shown]
	v_cndmask_b32_e64 v5, v5, v6, s[6:7]
	v_cndmask_b32_e64 v5, v5, v8, s[8:9]
	s_waitcnt vmcnt(4)
	v_cndmask_b32_e64 v4, v4, v29, s[12:13]
	scratch_load_dwordx4 v[16:19], off, off offset:3060 ; 16-byte Folded Reload
	scratch_load_dwordx4 v[20:23], off, off offset:3076 ; 16-byte Folded Reload
	scratch_load_dwordx4 v[24:27], off, off offset:3092 ; 16-byte Folded Reload
	scratch_load_dwordx4 v[28:31], off, off offset:3108 ; 16-byte Folded Reload
	scratch_load_dwordx4 v[32:35], off, off offset:3124 ; 16-byte Folded Reload
	scratch_load_dwordx4 v[36:39], off, off offset:3140 ; 16-byte Folded Reload
	scratch_load_dwordx4 v[40:43], off, off offset:3156 ; 16-byte Folded Reload
	scratch_load_dwordx4 v[44:47], off, off offset:3172 ; 16-byte Folded Reload
	s_waitcnt vmcnt(4)
	v_cndmask_b32_e64 v4, v4, v31, s[14:15]
	scratch_load_dwordx4 v[16:19], off, off offset:3828 ; 16-byte Folded Reload
	scratch_load_dwordx4 v[20:23], off, off offset:3844 ; 16-byte Folded Reload
	scratch_load_dwordx4 v[24:27], off, off offset:3860 ; 16-byte Folded Reload
	scratch_load_dwordx4 v[28:31], off, off offset:3876 ; 16-byte Folded Reload
	scratch_load_dwordx4 v[32:35], off, off offset:3892 ; 16-byte Folded Reload
	scratch_load_dwordx4 v[36:39], off, off offset:3908 ; 16-byte Folded Reload
	scratch_load_dwordx4 v[40:43], off, off offset:3924 ; 16-byte Folded Reload
	scratch_load_dwordx4 v[44:47], off, off offset:3940 ; 16-byte Folded Reload
	;; [unrolled: 10-line block ×6, first 2 shown]
	s_waitcnt vmcnt(3)
	v_cndmask_b32_e64 v4, v6, v32, s[0:1]
	v_lshl_add_u32 v6, v142, 2, v15
	v_cmp_ngt_f64_e64 s[0:1], 0, v[4:5]
	scratch_load_dword v4, v6, off
                                        ; implicit-def: $vgpr5
	s_and_saveexec_b64 s[6:7], s[0:1]
	s_xor_b64 s[6:7], exec, s[6:7]
	s_cbranch_execz .LBB0_26
; %bb.25:                               ;   in Loop: Header=BB0_24 Depth=1
	scratch_load_dword v5, off, off offset:96
                                        ; implicit-def: $vgpr6
	s_waitcnt vmcnt(0)
	v_cmp_eq_u32_e64 s[0:1], -1, v5
	v_mov_b32_e32 v5, 0x60
	s_and_b64 s[4:5], s[0:1], exec
.LBB0_26:                               ;   in Loop: Header=BB0_24 Depth=1
	s_andn2_saveexec_b64 s[0:1], s[6:7]
	s_cbranch_execz .LBB0_28
; %bb.27:                               ;   in Loop: Header=BB0_24 Depth=1
	scratch_load_dword v7, off, off offset:100
	v_mov_b32_e32 v5, 0x64
	s_or_b64 s[4:5], s[4:5], exec
	s_waitcnt vmcnt(0)
	scratch_store_dword v6, v7, off
.LBB0_28:                               ;   in Loop: Header=BB0_24 Depth=1
	s_or_b64 exec, exec, s[0:1]
	s_mov_b64 s[0:1], exec
	s_movk_i32 s6, 0x1074
	scratch_load_dwordx4 v[22:25], off, s6  ; 16-byte Folded Reload
	scratch_load_dwordx4 v[26:29], off, s6 offset:16 ; 16-byte Folded Reload
	scratch_load_dwordx4 v[30:33], off, s6 offset:32 ; 16-byte Folded Reload
	;; [unrolled: 1-line block ×7, first 2 shown]
	s_and_b64 s[4:5], s[0:1], s[4:5]
	s_waitcnt vmcnt(6)
	v_mov_b64_e32 v[90:91], v[28:29]
	s_mov_b64 exec, s[4:5]
	s_cbranch_execz .LBB0_23
; %bb.29:                               ;   in Loop: Header=BB0_24 Depth=1
	scratch_store_dword v5, v142, off
	s_branch .LBB0_23
.LBB0_30:
	s_or_b64 exec, exec, s[18:19]
	s_and_b64 s[4:5], vcc, exec
.LBB0_31:
	s_or_b64 exec, exec, s[16:17]
	s_and_saveexec_b64 s[0:1], s[2:3]
	s_cbranch_execz .LBB0_33
; %bb.32:
	v_lshlrev_b32_e32 v4, 2, v100
	v_mov_b32_e32 v5, 16
	v_cmp_gt_f64_e32 vcc, 0, v[138:139]
	v_add3_u32 v4, v5, v4, 40
	v_lshlrev_b32_e32 v6, 2, v102
	s_or_b64 s[2:3], vcc, s[4:5]
	v_lshlrev_b32_e32 v3, 2, v14
	v_add3_u32 v6, v5, v6, 40
	v_cndmask_b32_e64 v2, v101, -1, s[2:3]
	v_add3_u32 v3, v5, v3, 40
	scratch_store_dword v4, v102, off
	scratch_store_dword v6, v14, off
	;; [unrolled: 1-line block ×3, first 2 shown]
.LBB0_33:
	s_or_b64 exec, exec, s[0:1]
	scratch_load_dword v137, off, off offset:96
	scratch_load_dwordx4 v[16:19], off, off offset:1396 ; 16-byte Folded Reload
	scratch_load_dwordx4 v[20:23], off, off offset:1412 ; 16-byte Folded Reload
	;; [unrolled: 1-line block ×8, first 2 shown]
	v_mov_b64_e32 v[80:81], -1
	v_mov_b32_e32 v97, -1
	v_mov_b32_e32 v142, -1
	v_mov_b64_e32 v[140:141], 0
	s_waitcnt vmcnt(8)
	v_cmp_eq_u32_e32 vcc, 1, v137
	s_waitcnt vmcnt(5)
	v_mov_b64_e32 v[8:9], v[24:25]
	scratch_load_dwordx4 v[16:19], off, off offset:2292 ; 16-byte Folded Reload
	scratch_load_dwordx4 v[20:23], off, off offset:2308 ; 16-byte Folded Reload
	;; [unrolled: 1-line block ×8, first 2 shown]
	v_cndmask_b32_e32 v2, v105, v115, vcc
	v_cmp_eq_u32_e64 s[0:1], 2, v137
	v_cmp_eq_u32_e64 s[2:3], 3, v137
	v_cndmask_b32_e32 v3, v104, v114, vcc
	v_cndmask_b32_e64 v2, v2, v113, s[0:1]
	v_cndmask_b32_e64 v2, v2, v91, s[2:3]
	v_cmp_eq_u32_e32 vcc, 4, v137
	v_cndmask_b32_e64 v3, v3, v112, s[0:1]
	v_cmp_eq_u32_e64 s[0:1], 5, v137
	v_cndmask_b32_e32 v2, v2, v9, vcc
	v_cndmask_b32_e64 v3, v3, v90, s[2:3]
	v_cndmask_b32_e32 v3, v3, v8, vcc
	v_cmp_eq_u32_e32 vcc, 6, v137
	v_mov_b64_e32 v[8:9], v[80:81]
	s_waitcnt vmcnt(5)
	v_cndmask_b32_e64 v2, v2, v27, s[0:1]
	scratch_load_dwordx4 v[16:19], off, off offset:2164 ; 16-byte Folded Reload
	scratch_load_dwordx4 v[20:23], off, off offset:2180 ; 16-byte Folded Reload
	;; [unrolled: 1-line block ×8, first 2 shown]
	s_waitcnt vmcnt(4)
	v_cndmask_b32_e32 v2, v2, v29, vcc
	scratch_load_dwordx4 v[16:19], off, off offset:2804 ; 16-byte Folded Reload
	scratch_load_dwordx4 v[20:23], off, off offset:2820 ; 16-byte Folded Reload
	;; [unrolled: 1-line block ×8, first 2 shown]
	s_waitcnt vmcnt(5)
	v_cndmask_b32_e64 v3, v3, v26, s[0:1]
	scratch_load_dwordx4 v[16:19], off, off offset:2036 ; 16-byte Folded Reload
	scratch_load_dwordx4 v[20:23], off, off offset:2052 ; 16-byte Folded Reload
	;; [unrolled: 1-line block ×8, first 2 shown]
	v_cmp_eq_u32_e64 s[0:1], 7, v137
	s_waitcnt vmcnt(4)
	s_nop 0
	v_cndmask_b32_e64 v2, v2, v31, s[0:1]
	scratch_load_dwordx4 v[16:19], off, off offset:2676 ; 16-byte Folded Reload
	scratch_load_dwordx4 v[20:23], off, off offset:2692 ; 16-byte Folded Reload
	;; [unrolled: 1-line block ×8, first 2 shown]
	s_waitcnt vmcnt(4)
	v_cndmask_b32_e32 v3, v3, v28, vcc
	scratch_load_dwordx4 v[16:19], off, off offset:2548 ; 16-byte Folded Reload
	scratch_load_dwordx4 v[20:23], off, off offset:2564 ; 16-byte Folded Reload
	;; [unrolled: 1-line block ×8, first 2 shown]
	v_cmp_eq_u32_e32 vcc, 8, v137
	s_waitcnt vmcnt(4)
	v_cndmask_b32_e64 v4, v3, v30, s[0:1]
	scratch_load_dwordx4 v[16:19], off, off offset:1908 ; 16-byte Folded Reload
	scratch_load_dwordx4 v[20:23], off, off offset:1924 ; 16-byte Folded Reload
	;; [unrolled: 1-line block ×8, first 2 shown]
	v_cmp_lt_i32_e64 s[0:1], -1, v137
	s_waitcnt vmcnt(3)
	v_cndmask_b32_e32 v103, v2, v33, vcc
	scratch_load_dwordx4 v[16:19], off, off offset:2420 ; 16-byte Folded Reload
	scratch_load_dwordx4 v[20:23], off, off offset:2436 ; 16-byte Folded Reload
	;; [unrolled: 1-line block ×8, first 2 shown]
	s_waitcnt vmcnt(3)
	v_cndmask_b32_e32 v102, v4, v32, vcc
	s_and_saveexec_b64 s[10:11], s[0:1]
	s_cbranch_execz .LBB0_37
; %bb.34:
	scratch_load_dwordx4 v[16:19], off, off offset:1396 ; 16-byte Folded Reload
	scratch_load_dwordx4 v[20:23], off, off offset:1412 ; 16-byte Folded Reload
	;; [unrolled: 1-line block ×16, first 2 shown]
	s_mov_b64 s[12:13], 0
	v_mov_b32_e32 v97, -1
	v_mov_b32_e32 v7, v137
	v_mov_b32_e32 v80, -1
	v_mov_b32_e32 v8, -1
	;; [unrolled: 1-line block ×3, first 2 shown]
	v_mov_b64_e32 v[10:11], v[102:103]
	s_waitcnt vmcnt(13)
	v_mov_b64_e32 v[12:13], v[24:25]
	s_waitcnt vmcnt(3)
	v_mov_b32_e32 v17, v43
	scratch_load_dwordx4 v[18:21], off, off offset:2036 ; 16-byte Folded Reload
	scratch_load_dwordx4 v[22:25], off, off offset:2052 ; 16-byte Folded Reload
	scratch_load_dwordx4 v[26:29], off, off offset:2068 ; 16-byte Folded Reload
	scratch_load_dwordx4 v[30:33], off, off offset:2084 ; 16-byte Folded Reload
	scratch_load_dwordx4 v[34:37], off, off offset:2100 ; 16-byte Folded Reload
	scratch_load_dwordx4 v[38:41], off, off offset:2116 ; 16-byte Folded Reload
	scratch_load_dwordx4 v[42:45], off, off offset:2132 ; 16-byte Folded Reload
	scratch_load_dwordx4 v[46:49], off, off offset:2148 ; 16-byte Folded Reload
	s_waitcnt vmcnt(4)
	v_mov_b32_e32 v19, v33
	scratch_load_dwordx4 v[20:23], off, off offset:2164 ; 16-byte Folded Reload
	scratch_load_dwordx4 v[24:27], off, off offset:2180 ; 16-byte Folded Reload
	scratch_load_dwordx4 v[28:31], off, off offset:2196 ; 16-byte Folded Reload
	scratch_load_dwordx4 v[32:35], off, off offset:2212 ; 16-byte Folded Reload
	scratch_load_dwordx4 v[36:39], off, off offset:2228 ; 16-byte Folded Reload
	scratch_load_dwordx4 v[40:43], off, off offset:2244 ; 16-byte Folded Reload
	scratch_load_dwordx4 v[44:47], off, off offset:2260 ; 16-byte Folded Reload
	scratch_load_dwordx4 v[48:51], off, off offset:2276 ; 16-byte Folded Reload
	;; [unrolled: 10-line block ×3, first 2 shown]
	scratch_load_dwordx4 v[34:37], off, off offset:2420 ; 16-byte Folded Reload
	scratch_load_dwordx4 v[38:41], off, off offset:2436 ; 16-byte Folded Reload
	;; [unrolled: 1-line block ×8, first 2 shown]
	s_waitcnt vmcnt(13)
	v_mov_b32_e32 v23, v33
	s_waitcnt vmcnt(3)
	v_mov_b32_e32 v16, v50
	scratch_load_dwordx4 v[24:27], off, off offset:2548 ; 16-byte Folded Reload
	scratch_load_dwordx4 v[28:31], off, off offset:2564 ; 16-byte Folded Reload
	scratch_load_dwordx4 v[32:35], off, off offset:2580 ; 16-byte Folded Reload
	scratch_load_dwordx4 v[36:39], off, off offset:2596 ; 16-byte Folded Reload
	scratch_load_dwordx4 v[40:43], off, off offset:2612 ; 16-byte Folded Reload
	scratch_load_dwordx4 v[44:47], off, off offset:2628 ; 16-byte Folded Reload
	scratch_load_dwordx4 v[48:51], off, off offset:2644 ; 16-byte Folded Reload
	scratch_load_dwordx4 v[52:55], off, off offset:2660 ; 16-byte Folded Reload
	s_waitcnt vmcnt(4)
	v_mov_b32_e32 v20, v38
	scratch_load_dwordx4 v[24:27], off, off offset:2676 ; 16-byte Folded Reload
	scratch_load_dwordx4 v[28:31], off, off offset:2692 ; 16-byte Folded Reload
	scratch_load_dwordx4 v[32:35], off, off offset:2708 ; 16-byte Folded Reload
	scratch_load_dwordx4 v[36:39], off, off offset:2724 ; 16-byte Folded Reload
	scratch_load_dwordx4 v[40:43], off, off offset:2740 ; 16-byte Folded Reload
	scratch_load_dwordx4 v[44:47], off, off offset:2756 ; 16-byte Folded Reload
	scratch_load_dwordx4 v[48:51], off, off offset:2772 ; 16-byte Folded Reload
	scratch_load_dwordx4 v[52:55], off, off offset:2788 ; 16-byte Folded Reload
	;; [unrolled: 10-line block ×3, first 2 shown]
	s_waitcnt vmcnt(5)
	v_mov_b32_e32 v24, v34
.LBB0_35:                               ; =>This Inner Loop Header: Depth=1
	s_waitcnt vmcnt(0)
	v_lshl_add_u32 v4, v7, 2, v15
	scratch_load_dword v9, v4, off
	v_mov_b64_e32 v[140:141], v[10:11]
	s_waitcnt vmcnt(0)
	v_cmp_gt_i32_e32 vcc, 0, v9
	s_nop 1
	v_cndmask_b32_e32 v18, v9, v137, vcc
	v_cmp_eq_u32_e64 s[2:3], 1, v18
	v_cmp_eq_u32_e64 s[4:5], 2, v18
	;; [unrolled: 1-line block ×3, first 2 shown]
	v_cndmask_b32_e64 v4, v105, v115, s[2:3]
	v_cndmask_b32_e64 v5, v104, v114, s[2:3]
	;; [unrolled: 1-line block ×5, first 2 shown]
	v_cmp_eq_u32_e64 s[2:3], 4, v18
	v_cndmask_b32_e64 v5, v5, v90, s[6:7]
	v_cmp_eq_u32_e64 s[4:5], 5, v18
	v_cndmask_b32_e64 v4, v4, v13, s[2:3]
	v_cndmask_b32_e64 v5, v5, v12, s[2:3]
	;; [unrolled: 1-line block ×3, first 2 shown]
	v_cmp_eq_u32_e64 s[2:3], 6, v18
	v_cndmask_b32_e64 v5, v5, v24, s[4:5]
	v_cmp_eq_u32_e64 s[4:5], 7, v18
	v_cndmask_b32_e64 v4, v4, v21, s[2:3]
	v_cndmask_b32_e64 v5, v5, v22, s[2:3]
	;; [unrolled: 1-line block ×4, first 2 shown]
	v_cmp_eq_u32_e64 s[2:3], 8, v18
	v_cmp_gt_f64_e64 s[4:5], 0, v[140:141]
	s_nop 0
	v_cndmask_b32_e64 v15, v4, v17, s[2:3]
	v_cndmask_b32_e64 v14, v5, v16, s[2:3]
	v_cmp_gt_f64_e64 s[6:7], 0, v[14:15]
	v_cmp_le_f64_e64 s[8:9], 0, v[14:15]
	v_mov_b64_e32 v[10:11], v[14:15]
	scratch_load_dword v15, off, off offset:112 ; 4-byte Folded Reload
	v_cmp_le_f64_e64 s[2:3], 0, v[140:141]
	s_and_b64 s[2:3], s[2:3], s[6:7]
	s_and_b64 s[4:5], s[4:5], s[8:9]
	v_cndmask_b32_e64 v8, v8, v18, s[2:3]
	v_cndmask_b32_e64 v142, v142, v18, s[4:5]
	;; [unrolled: 1-line block ×4, first 2 shown]
	s_or_b64 s[12:13], vcc, s[12:13]
	v_mov_b32_e32 v7, v9
	s_andn2_b64 exec, exec, s[12:13]
	s_cbranch_execnz .LBB0_35
; %bb.36:
	s_or_b64 exec, exec, s[12:13]
.LBB0_37:
	s_or_b64 exec, exec, s[10:11]
	v_cmp_lt_i32_e64 s[2:3], -1, v97
	v_mov_b32_e32 v0, -1
	v_mov_b32_e32 v100, -1
	;; [unrolled: 1-line block ×3, first 2 shown]
	s_and_saveexec_b64 s[54:55], s[2:3]
	s_cbranch_execz .LBB0_39
; %bb.38:
	scratch_load_dwordx4 v[10:13], off, off offset:1396 ; 16-byte Folded Reload
	scratch_load_dwordx4 v[14:17], off, off offset:1412 ; 16-byte Folded Reload
	scratch_load_dwordx4 v[18:21], off, off offset:1428 ; 16-byte Folded Reload
	scratch_load_dwordx4 v[22:25], off, off offset:1444 ; 16-byte Folded Reload
	scratch_load_dwordx4 v[26:29], off, off offset:1460 ; 16-byte Folded Reload
	scratch_load_dwordx4 v[30:33], off, off offset:1476 ; 16-byte Folded Reload
	scratch_load_dwordx4 v[34:37], off, off offset:1492 ; 16-byte Folded Reload
	scratch_load_dwordx4 v[38:41], off, off offset:1508 ; 16-byte Folded Reload
	v_cmp_eq_u32_e64 s[4:5], 1, v8
	v_cmp_eq_u32_e64 s[6:7], 2, v8
	;; [unrolled: 1-line block ×3, first 2 shown]
	v_cndmask_b32_e64 v7, v105, v115, s[4:5]
	v_cmp_eq_u32_e64 s[10:11], 4, v8
	v_cmp_eq_u32_e64 s[12:13], 5, v8
	;; [unrolled: 1-line block ×5, first 2 shown]
	v_cndmask_b32_e64 v8, v104, v114, s[4:5]
	v_cndmask_b32_e64 v7, v7, v113, s[6:7]
	;; [unrolled: 1-line block ×5, first 2 shown]
	v_cmp_eq_u32_e64 s[20:21], 1, v97
	v_cmp_eq_u32_e64 s[22:23], 2, v97
	v_cmp_eq_u32_e64 s[24:25], 3, v97
	v_cmp_eq_u32_e64 s[26:27], 4, v97
	v_cmp_eq_u32_e64 s[28:29], 5, v97
	v_cmp_eq_u32_e64 s[30:31], 6, v97
	v_cmp_eq_u32_e64 s[34:35], 7, v97
	v_cmp_eq_u32_e64 s[36:37], 8, v97
	s_movk_i32 s33, 0x1174
	s_waitcnt vmcnt(5)
	v_mov_b64_e32 v[12:13], v[18:19]
	scratch_load_dwordx4 v[14:17], off, off offset:2292 ; 16-byte Folded Reload
	scratch_load_dwordx4 v[18:21], off, off offset:2308 ; 16-byte Folded Reload
	;; [unrolled: 1-line block ×8, first 2 shown]
	v_cndmask_b32_e64 v7, v7, v13, s[10:11]
	v_cndmask_b32_e64 v8, v8, v12, s[10:11]
	s_waitcnt vmcnt(5)
	v_mov_b32_e32 v99, v25
	scratch_load_dwordx4 v[14:17], off, off offset:2164 ; 16-byte Folded Reload
	scratch_load_dwordx4 v[18:21], off, off offset:2180 ; 16-byte Folded Reload
	scratch_load_dwordx4 v[22:25], off, off offset:2196 ; 16-byte Folded Reload
	scratch_load_dwordx4 v[26:29], off, off offset:2212 ; 16-byte Folded Reload
	scratch_load_dwordx4 v[30:33], off, off offset:2228 ; 16-byte Folded Reload
	scratch_load_dwordx4 v[34:37], off, off offset:2244 ; 16-byte Folded Reload
	scratch_load_dwordx4 v[38:41], off, off offset:2260 ; 16-byte Folded Reload
	scratch_load_dwordx4 v[42:45], off, off offset:2276 ; 16-byte Folded Reload
	v_cndmask_b32_e64 v7, v7, v99, s[12:13]
	s_waitcnt vmcnt(4)
	v_mov_b32_e32 v83, v27
	scratch_load_dwordx4 v[14:17], off, off offset:2036 ; 16-byte Folded Reload
	scratch_load_dwordx4 v[18:21], off, off offset:2052 ; 16-byte Folded Reload
	scratch_load_dwordx4 v[22:25], off, off offset:2068 ; 16-byte Folded Reload
	scratch_load_dwordx4 v[26:29], off, off offset:2084 ; 16-byte Folded Reload
	scratch_load_dwordx4 v[30:33], off, off offset:2100 ; 16-byte Folded Reload
	scratch_load_dwordx4 v[34:37], off, off offset:2116 ; 16-byte Folded Reload
	scratch_load_dwordx4 v[38:41], off, off offset:2132 ; 16-byte Folded Reload
	scratch_load_dwordx4 v[42:45], off, off offset:2148 ; 16-byte Folded Reload
	;; [unrolled: 11-line block ×7, first 2 shown]
	scratch_load_dwordx4 v[44:47], off, off offset:756 ; 16-byte Folded Reload
	scratch_load_dwordx4 v[48:51], off, off offset:772 ; 16-byte Folded Reload
	;; [unrolled: 1-line block ×8, first 2 shown]
	v_cndmask_b32_e64 v15, v7, v17, s[18:19]
	v_cndmask_b32_e64 v7, v105, v115, s[20:21]
	;; [unrolled: 1-line block ×8, first 2 shown]
	s_waitcnt vmcnt(12)
	v_cndmask_b32_e64 v31, v7, v17, s[36:37]
	v_cndmask_b32_e64 v7, v147, v109, s[20:21]
	v_cndmask_b32_e64 v7, v7, v107, s[22:23]
	s_waitcnt vmcnt(11)
	v_mov_b32_e32 v16, v34
	s_waitcnt vmcnt(6)
	v_mov_b64_e32 v[32:33], v[50:51]
	scratch_load_dwordx4 v[34:37], off, off offset:3316 ; 16-byte Folded Reload
	scratch_load_dwordx4 v[38:41], off, off offset:3332 ; 16-byte Folded Reload
	;; [unrolled: 1-line block ×8, first 2 shown]
	v_cndmask_b32_e64 v14, v8, v16, s[18:19]
	v_cndmask_b32_e64 v8, v104, v114, s[20:21]
	;; [unrolled: 1-line block ×9, first 2 shown]
	v_add_f64 v[8:9], -v[14:15], 0
	v_add_f64 v[10:11], v[30:31], -v[14:15]
	v_div_scale_f64 v[20:21], s[38:39], v[10:11], v[10:11], v[8:9]
	v_rcp_f64_e32 v[22:23], v[20:21]
	v_cndmask_b32_e64 v7, v7, v33, s[24:25]
	v_cndmask_b32_e64 v7, v7, v117, s[26:27]
	v_fma_f64 v[24:25], -v[20:21], v[22:23], 1.0
	v_fmac_f64_e32 v[22:23], v[22:23], v[24:25]
	v_fma_f64 v[24:25], -v[20:21], v[22:23], 1.0
	v_fmac_f64_e32 v[22:23], v[22:23], v[24:25]
	v_div_scale_f64 v[24:25], vcc, v[8:9], v[10:11], v[8:9]
	v_mul_f64 v[26:27], v[24:25], v[22:23]
	v_fma_f64 v[20:21], -v[20:21], v[26:27], v[24:25]
	s_nop 1
	v_div_fmas_f64 v[20:21], v[20:21], v[22:23], v[26:27]
	v_div_fixup_f64 v[148:149], v[20:21], v[10:11], v[8:9]
	v_cndmask_b32_e64 v10, v146, v108, s[20:21]
	v_cndmask_b32_e64 v10, v10, v106, s[22:23]
	;; [unrolled: 1-line block ×4, first 2 shown]
	v_add_f64 v[138:139], -v[148:149], 1.0
	v_mul_f64 v[94:95], v[14:15], v[138:139]
	v_fmac_f64_e32 v[94:95], v[30:31], v[148:149]
	s_waitcnt vmcnt(5)
	v_mov_b32_e32 v27, v45
	scratch_load_dwordx4 v[34:37], off, off offset:3188 ; 16-byte Folded Reload
	scratch_load_dwordx4 v[38:41], off, off offset:3204 ; 16-byte Folded Reload
	scratch_load_dwordx4 v[42:45], off, off offset:3220 ; 16-byte Folded Reload
	scratch_load_dwordx4 v[46:49], off, off offset:3236 ; 16-byte Folded Reload
	scratch_load_dwordx4 v[50:53], off, off offset:3252 ; 16-byte Folded Reload
	scratch_load_dwordx4 v[54:57], off, off offset:3268 ; 16-byte Folded Reload
	scratch_load_dwordx4 v[58:61], off, off offset:3284 ; 16-byte Folded Reload
	scratch_load_dwordx4 v[62:65], off, off offset:3300 ; 16-byte Folded Reload
	v_cndmask_b32_e64 v7, v7, v27, s[28:29]
	s_waitcnt vmcnt(4)
	v_mov_b32_e32 v25, v47
	scratch_load_dwordx4 v[34:37], off, off offset:3060 ; 16-byte Folded Reload
	scratch_load_dwordx4 v[38:41], off, off offset:3076 ; 16-byte Folded Reload
	scratch_load_dwordx4 v[42:45], off, off offset:3092 ; 16-byte Folded Reload
	scratch_load_dwordx4 v[46:49], off, off offset:3108 ; 16-byte Folded Reload
	scratch_load_dwordx4 v[50:53], off, off offset:3124 ; 16-byte Folded Reload
	scratch_load_dwordx4 v[54:57], off, off offset:3140 ; 16-byte Folded Reload
	scratch_load_dwordx4 v[58:61], off, off offset:3156 ; 16-byte Folded Reload
	scratch_load_dwordx4 v[62:65], off, off offset:3172 ; 16-byte Folded Reload
	v_cndmask_b32_e64 v7, v7, v25, s[30:31]
	;; [unrolled: 11-line block ×6, first 2 shown]
	s_waitcnt vmcnt(3)
	v_mov_b32_e32 v19, v51
	scratch_load_dwordx4 v[34:37], off, off offset:3444 ; 16-byte Folded Reload
	scratch_load_dwordx4 v[38:41], off, off offset:3460 ; 16-byte Folded Reload
	;; [unrolled: 1-line block ×8, first 2 shown]
	scratch_load_dword v100, off, off offset:100
	v_cndmask_b32_e64 v21, v7, v19, s[36:37]
	v_cndmask_b32_e64 v7, v147, v109, s[4:5]
	;; [unrolled: 1-line block ×13, first 2 shown]
	s_waitcnt vmcnt(4)
	v_mov_b32_e32 v18, v50
	v_cndmask_b32_e64 v20, v10, v18, s[36:37]
	v_cndmask_b32_e64 v10, v146, v108, s[4:5]
	;; [unrolled: 1-line block ×9, first 2 shown]
	v_mul_f64 v[92:93], v[10:11], v[138:139]
	v_fmac_f64_e32 v[92:93], v[20:21], v[148:149]
	s_waitcnt vmcnt(0)
	v_cmp_eq_u32_e64 s[40:41], 8, v100
	v_cmp_eq_u32_e64 s[42:43], 7, v100
	;; [unrolled: 1-line block ×3, first 2 shown]
	v_cndmask_b32_e64 v0, v18, v92, s[40:41]
	scratch_store_dword off, v0, off offset:3444 ; 4-byte Folded Spill
	v_cndmask_b32_e64 v0, v22, v92, s[42:43]
	scratch_store_dword off, v0, off offset:3572 ; 4-byte Folded Spill
	v_cmp_eq_u32_e64 s[46:47], 5, v100
	v_cmp_eq_u32_e64 s[38:39], 3, v100
	v_cndmask_b32_e64 v118, v24, v92, s[44:45]
	v_cndmask_b32_e64 v119, v26, v92, s[46:47]
	;; [unrolled: 1-line block ×8, first 2 shown]
	scratch_load_dwordx4 v[18:21], off, off offset:1140 ; 16-byte Folded Reload
	scratch_load_dwordx4 v[22:25], off, off offset:1156 ; 16-byte Folded Reload
	scratch_load_dwordx4 v[26:29], off, off offset:1172 ; 16-byte Folded Reload
	scratch_load_dwordx4 v[30:33], off, off offset:1188 ; 16-byte Folded Reload
	scratch_load_dwordx4 v[34:37], off, off offset:1204 ; 16-byte Folded Reload
	scratch_load_dwordx4 v[38:41], off, off offset:1220 ; 16-byte Folded Reload
	scratch_load_dwordx4 v[42:45], off, off offset:1236 ; 16-byte Folded Reload
	scratch_load_dwordx4 v[46:49], off, off offset:1252 ; 16-byte Folded Reload
	v_cmp_eq_u32_e32 vcc, 4, v100
	v_cndmask_b32_e64 v131, v16, v94, s[40:41]
	v_cndmask_b32_e64 v127, v96, v94, s[44:45]
	;; [unrolled: 1-line block ×3, first 2 shown]
	v_cndmask_b32_e32 v96, v12, v94, vcc
	v_cndmask_b32_e32 v143, v13, v95, vcc
	;; [unrolled: 1-line block ×4, first 2 shown]
	v_cndmask_b32_e64 v134, v81, v95, s[42:43]
	v_cndmask_b32_e64 v133, v83, v95, s[44:45]
	;; [unrolled: 1-line block ×4, first 2 shown]
	v_mov_b64_e32 v[98:99], v[76:77]
	v_cndmask_b32_e64 v130, v82, v94, s[42:43]
	v_cndmask_b32_e64 v136, v90, v94, s[38:39]
	v_cndmask_b32_e64 v144, v91, v95, s[38:39]
	s_waitcnt vmcnt(5)
	v_mov_b32_e32 v71, v29
	scratch_load_dwordx4 v[18:21], off, off offset:1012 ; 16-byte Folded Reload
	scratch_load_dwordx4 v[22:25], off, off offset:1028 ; 16-byte Folded Reload
	;; [unrolled: 1-line block ×8, first 2 shown]
	v_cndmask_b32_e64 v7, v7, v71, s[28:29]
	s_waitcnt vmcnt(4)
	v_mov_b32_e32 v73, v31
	scratch_load_dwordx4 v[18:21], off, off offset:884 ; 16-byte Folded Reload
	scratch_load_dwordx4 v[22:25], off, off offset:900 ; 16-byte Folded Reload
	;; [unrolled: 1-line block ×8, first 2 shown]
	s_waitcnt vmcnt(7)
	v_cndmask_b32_e64 v20, v160, v154, s[20:21]
	v_cndmask_b32_e64 v20, v20, v110, s[22:23]
	v_cndmask_b32_e64 v20, v20, v128, s[24:25]
	v_cndmask_b32_e64 v20, v20, v86, s[26:27]
	v_cndmask_b32_e64 v7, v7, v73, s[30:31]
	s_waitcnt vmcnt(4)
	v_mov_b32_e32 v75, v33
	scratch_load_dwordx4 v[22:25], off, off offset:1780 ; 16-byte Folded Reload
	scratch_load_dwordx4 v[26:29], off, off offset:1796 ; 16-byte Folded Reload
	;; [unrolled: 1-line block ×8, first 2 shown]
	v_cndmask_b32_e64 v7, v7, v75, s[34:35]
	s_waitcnt vmcnt(5)
	v_mov_b32_e32 v72, v32
	scratch_load_dwordx4 v[22:25], off, off offset:1652 ; 16-byte Folded Reload
	scratch_load_dwordx4 v[26:29], off, off offset:1668 ; 16-byte Folded Reload
	;; [unrolled: 1-line block ×16, first 2 shown]
	v_cndmask_b32_e64 v20, v20, v72, s[28:29]
	s_waitcnt vmcnt(12)
	v_mov_b32_e32 v70, v34
	v_cndmask_b32_e64 v20, v20, v70, s[30:31]
	s_waitcnt vmcnt(4)
	v_cndmask_b32_e64 v51, v20, v52, s[34:35]
	scratch_load_dwordx4 v[18:21], off, s33 ; 16-byte Folded Reload
	scratch_load_dwordx4 v[22:25], off, s33 offset:16 ; 16-byte Folded Reload
	scratch_load_dwordx4 v[26:29], off, s33 offset:32 ; 16-byte Folded Reload
	;; [unrolled: 1-line block ×7, first 2 shown]
	s_waitcnt vmcnt(2)
	v_cndmask_b32_e64 v41, v7, v35, s[36:37]
	scratch_load_dwordx4 v[2:5], off, off offset:1268 ; 16-byte Folded Reload
	scratch_load_dwordx4 v[6:9], off, off offset:1284 ; 16-byte Folded Reload
	;; [unrolled: 1-line block ×8, first 2 shown]
	s_waitcnt vmcnt(6)
	v_cndmask_b32_e64 v7, v161, v155, s[4:5]
	s_waitcnt vmcnt(3)
	v_cndmask_b32_e64 v20, v160, v154, s[4:5]
	v_cndmask_b32_e64 v7, v7, v111, s[6:7]
	;; [unrolled: 1-line block ×20, first 2 shown]
	v_mul_f64 v[116:117], v[44:45], v[138:139]
	v_fmac_f64_e32 v[116:117], v[40:41], v[148:149]
	v_cndmask_b32_e64 v151, v18, v116, s[40:41]
	v_cndmask_b32_e64 v166, v35, v117, s[40:41]
	scratch_load_dwordx4 v[8:11], off, off offset:116 ; 16-byte Folded Reload
	scratch_load_dwordx4 v[12:15], off, off offset:132 ; 16-byte Folded Reload
	scratch_load_dwordx4 v[16:19], off, off offset:148 ; 16-byte Folded Reload
	scratch_load_dwordx4 v[20:23], off, off offset:164 ; 16-byte Folded Reload
	scratch_load_dwordx4 v[24:27], off, off offset:180 ; 16-byte Folded Reload
	scratch_load_dwordx4 v[28:31], off, off offset:196 ; 16-byte Folded Reload
	scratch_load_dwordx4 v[32:35], off, off offset:212 ; 16-byte Folded Reload
	scratch_load_dwordx4 v[36:39], off, off offset:228 ; 16-byte Folded Reload
	v_cndmask_b32_e64 v150, v52, v116, s[42:43]
	v_cndmask_b32_e32 v101, v87, v117, vcc
	v_cndmask_b32_e64 v145, v70, v116, s[44:45]
	v_cndmask_b32_e64 v157, v72, v116, s[46:47]
	;; [unrolled: 1-line block ×5, first 2 shown]
	v_cndmask_b32_e32 v167, v86, v116, vcc
	v_cndmask_b32_e64 v128, v128, v116, s[38:39]
	v_cndmask_b32_e64 v129, v129, v117, s[38:39]
	s_waitcnt vmcnt(5)
	v_mov_b32_e32 v81, v19
	scratch_load_dwordx4 v[8:11], off, off offset:500 ; 16-byte Folded Reload
	scratch_load_dwordx4 v[12:15], off, off offset:516 ; 16-byte Folded Reload
	;; [unrolled: 1-line block ×8, first 2 shown]
	v_cndmask_b32_e64 v7, v7, v81, s[12:13]
	s_waitcnt vmcnt(4)
	v_mov_b32_e32 v83, v21
	scratch_load_dwordx4 v[20:23], off, off offset:372 ; 16-byte Folded Reload
	scratch_load_dwordx4 v[24:27], off, off offset:388 ; 16-byte Folded Reload
	;; [unrolled: 1-line block ×8, first 2 shown]
	s_waitcnt vmcnt(7)
	v_cndmask_b32_e64 v20, v158, v164, s[4:5]
	v_cndmask_b32_e64 v20, v20, v162, s[6:7]
	;; [unrolled: 1-line block ×5, first 2 shown]
	s_movk_i32 s4, 0xff4
	v_cmp_eq_u32_e64 s[6:7], 2, v80
	v_cmp_eq_u32_e64 s[8:9], 3, v80
	;; [unrolled: 1-line block ×3, first 2 shown]
	s_waitcnt vmcnt(4)
	v_mov_b32_e32 v87, v35
	scratch_load_dwordx4 v[22:25], off, off offset:244 ; 16-byte Folded Reload
	scratch_load_dwordx4 v[26:29], off, off offset:260 ; 16-byte Folded Reload
	;; [unrolled: 1-line block ×16, first 2 shown]
	v_cndmask_b32_e64 v82, v7, v87, s[16:17]
	s_waitcnt vmcnt(13)
	v_mov_b32_e32 v86, v32
	v_cndmask_b32_e64 v20, v20, v86, s[12:13]
	s_waitcnt vmcnt(4)
	v_cndmask_b32_e64 v0, v20, v60, s[14:15]
	scratch_load_dwordx4 v[20:23], off, off offset:3956 ; 16-byte Folded Reload
	scratch_load_dwordx4 v[24:27], off, off offset:3972 ; 16-byte Folded Reload
	;; [unrolled: 1-line block ×8, first 2 shown]
	v_cmp_eq_u32_e64 s[12:13], 5, v80
	v_cmp_eq_u32_e64 s[14:15], 6, v80
	s_waitcnt vmcnt(4)
	v_cndmask_b32_e64 v33, v0, v34, s[16:17]
	scratch_load_dwordx4 v[0:3], off, s4    ; 16-byte Folded Reload
	scratch_load_dwordx4 v[4:7], off, s4 offset:16 ; 16-byte Folded Reload
	scratch_load_dwordx4 v[8:11], off, s4 offset:32 ; 16-byte Folded Reload
	scratch_load_dwordx4 v[12:15], off, s4 offset:48 ; 16-byte Folded Reload
	scratch_load_dwordx4 v[16:19], off, s4 offset:64 ; 16-byte Folded Reload
	scratch_load_dwordx4 v[20:23], off, s4 offset:80 ; 16-byte Folded Reload
	scratch_load_dwordx4 v[24:27], off, s4 offset:96 ; 16-byte Folded Reload
	scratch_load_dwordx4 v[28:31], off, s4 offset:112 ; 16-byte Folded Reload
	s_movk_i32 s4, 0x10f4
	v_cmp_eq_u32_e64 s[16:17], 7, v80
	s_waitcnt vmcnt(3)
	v_mov_b32_e32 v37, v17
	scratch_load_dwordx4 v[0:3], off, s4    ; 16-byte Folded Reload
	scratch_load_dwordx4 v[4:7], off, s4 offset:16 ; 16-byte Folded Reload
	scratch_load_dwordx4 v[8:11], off, s4 offset:32 ; 16-byte Folded Reload
	;; [unrolled: 1-line block ×7, first 2 shown]
	s_waitcnt vmcnt(6)
	v_cndmask_b32_e64 v7, v159, v165, s[20:21]
	v_cndmask_b32_e64 v7, v7, v163, s[22:23]
	;; [unrolled: 1-line block ×3, first 2 shown]
	s_waitcnt vmcnt(2)
	v_cndmask_b32_e64 v20, v158, v164, s[20:21]
	v_cndmask_b32_e64 v7, v7, v121, s[26:27]
	;; [unrolled: 1-line block ×11, first 2 shown]
	v_lshlrev_b32_e32 v7, 2, v100
	v_mov_b32_e32 v8, 16
	v_cndmask_b32_e64 v20, v20, v34, s[34:35]
	v_add3_u32 v7, v8, v7, 40
	v_cndmask_b32_e64 v59, v82, v37, s[18:19]
	scratch_load_dword v3, off, off offset:3572 ; 4-byte Folded Reload
	scratch_load_dword v2, off, off offset:3444 ; 4-byte Folded Reload
	v_cmp_eq_u32_e64 s[4:5], 2, v100
	v_cmp_eq_u32_e64 s[20:21], 1, v142
	;; [unrolled: 1-line block ×3, first 2 shown]
	v_cndmask_b32_e64 v51, v106, v92, s[4:5]
	v_cndmask_b32_e64 v90, v107, v93, s[4:5]
	;; [unrolled: 1-line block ×5, first 2 shown]
	v_cmp_eq_u32_e64 s[24:25], 3, v142
	v_cmp_eq_u32_e64 s[26:27], 4, v142
	;; [unrolled: 1-line block ×5, first 2 shown]
	v_cndmask_b32_e64 v56, v20, v16, s[36:37]
	scratch_load_dword v20, v7, off
	v_cndmask_b32_e64 v58, v33, v16, s[18:19]
	v_mul_f64 v[78:79], v[58:59], v[138:139]
	v_fmac_f64_e32 v[78:79], v[56:57], v[148:149]
	v_cndmask_b32_e64 v58, v16, v78, s[40:41]
	v_cndmask_b32_e64 v57, v34, v78, s[42:43]
	;; [unrolled: 1-line block ×4, first 2 shown]
	v_cmp_eq_u32_e64 s[40:41], 1, v100
	v_cmp_eq_u32_e64 s[42:43], 0, v100
	v_cndmask_b32_e64 v12, v86, v78, s[46:47]
	v_cndmask_b32_e64 v86, v108, v92, s[40:41]
	v_cndmask_b32_e64 v87, v146, v92, s[42:43]
	v_cndmask_b32_e64 v91, v109, v93, s[40:41]
	v_cndmask_b32_e64 v92, v147, v93, s[42:43]
	v_cndmask_b32_e64 v72, v114, v94, s[40:41]
	v_cndmask_b32_e64 v70, v104, v94, s[42:43]
	v_cndmask_b32_e64 v93, v113, v95, s[4:5]
	v_cndmask_b32_e64 v94, v115, v95, s[40:41]
	v_cndmask_b32_e64 v95, v105, v95, s[42:43]
	v_cndmask_b32_e64 v34, v162, v78, s[4:5]
	v_cndmask_b32_e64 v35, v163, v79, s[4:5]
	v_cmp_eq_u32_e64 s[4:5], 1, v80
	v_cndmask_b32_e64 v6, v95, v94, s[20:21]
	v_cndmask_b32_e64 v6, v6, v93, s[22:23]
	;; [unrolled: 1-line block ×13, first 2 shown]
	v_cmp_eq_u32_e64 s[18:19], 8, v80
	v_cndmask_b32_e64 v6, v6, v134, s[34:35]
	v_cmp_eq_u32_e64 s[36:37], 8, v142
	v_cndmask_b32_e64 v9, v0, v135, s[18:19]
	v_cndmask_b32_e64 v0, v70, v72, s[4:5]
	;; [unrolled: 1-line block ×22, first 2 shown]
	v_cndmask_b32_e32 v64, v120, v78, vcc
	v_cndmask_b32_e64 v15, v164, v78, s[40:41]
	v_cndmask_b32_e64 v14, v158, v78, s[42:43]
	v_cndmask_b32_e32 v67, v121, v79, vcc
	v_cndmask_b32_e64 v98, v165, v79, s[40:41]
	v_cndmask_b32_e64 v99, v159, v79, s[42:43]
	;; [unrolled: 1-line block ×6, first 2 shown]
	s_waitcnt vmcnt(0)
	v_lshlrev_b32_e32 v7, 2, v20
	v_add3_u32 v7, v8, v7, 40
	scratch_load_dword v82, v7, off
	v_cndmask_b32_e64 v8, v0, v131, s[18:19]
	v_add_f64 v[0:1], -v[8:9], 0
	v_add_f64 v[6:7], v[76:77], -v[8:9]
	v_div_scale_f64 v[10:11], s[38:39], v[6:7], v[6:7], v[0:1]
	v_rcp_f64_e32 v[80:81], v[10:11]
	v_cmp_eq_u32_e64 s[38:39], 3, v20
	v_cmp_eq_u32_e64 s[40:41], 2, v20
	v_cmp_eq_u32_e64 s[42:43], 1, v20
	v_fma_f64 v[78:79], -v[10:11], v[80:81], 1.0
	v_fmac_f64_e32 v[80:81], v[80:81], v[78:79]
	v_fma_f64 v[78:79], -v[10:11], v[80:81], 1.0
	v_fmac_f64_e32 v[80:81], v[80:81], v[78:79]
	v_div_scale_f64 v[78:79], vcc, v[0:1], v[6:7], v[0:1]
	v_cmp_eq_u32_e64 s[44:45], 0, v20
	s_waitcnt vmcnt(0)
	scratch_store_dword off, v82, off offset:100
	v_mul_f64 v[82:83], v[78:79], v[80:81]
	v_fma_f64 v[10:11], -v[10:11], v[82:83], v[78:79]
	v_div_fmas_f64 v[10:11], v[10:11], v[80:81], v[82:83]
	v_div_fixup_f64 v[0:1], v[10:11], v[6:7], v[0:1]
	v_cndmask_b32_e64 v6, v92, v91, s[20:21]
	v_cndmask_b32_e64 v6, v6, v90, s[22:23]
	;; [unrolled: 1-line block ×32, first 2 shown]
	v_add_f64 v[10:11], -v[0:1], 1.0
	v_mul_f64 v[6:7], v[6:7], v[10:11]
	v_fmac_f64_e32 v[6:7], v[78:79], v[0:1]
	v_cmp_eq_u32_e32 vcc, 4, v20
	v_cndmask_b32_e64 v79, v89, v7, s[38:39]
	v_cndmask_b32_e64 v78, v88, v6, s[38:39]
	v_cndmask_b32_e32 v117, v85, v7, vcc
	v_cndmask_b32_e32 v116, v84, v6, vcc
	scratch_store_dwordx4 off, v[72:75], off offset:756 ; 16-byte Folded Spill
	s_nop 0
	scratch_store_dwordx4 off, v[76:79], off offset:772 ; 16-byte Folded Spill
	scratch_store_dwordx4 off, v[80:83], off offset:788 ; 16-byte Folded Spill
	;; [unrolled: 1-line block ×7, first 2 shown]
	v_cndmask_b32_e64 v106, v51, v6, s[40:41]
	v_mul_f64 v[8:9], v[8:9], v[10:11]
	v_cndmask_b32_e64 v51, v71, v73, s[20:21]
	v_cndmask_b32_e64 v51, v51, v75, s[22:23]
	;; [unrolled: 1-line block ×7, first 2 shown]
	v_fmac_f64_e32 v[8:9], v[76:77], v[0:1]
	v_cndmask_b32_e64 v77, v51, v166, s[36:37]
	v_cndmask_b32_e64 v51, v66, v68, s[20:21]
	;; [unrolled: 1-line block ×31, first 2 shown]
	v_mul_f64 v[78:79], v[78:79], v[10:11]
	v_cndmask_b32_e64 v51, v51, v61, s[34:35]
	v_fmac_f64_e32 v[78:79], v[76:77], v[0:1]
	v_cndmask_b32_e64 v77, v51, v62, s[36:37]
	v_cndmask_b32_e64 v51, v14, v15, s[20:21]
	;; [unrolled: 1-line block ×25, first 2 shown]
	v_mul_f64 v[10:11], v[80:81], v[10:11]
	v_fmac_f64_e32 v[10:11], v[76:77], v[0:1]
	v_cndmask_b32_e32 v17, v143, v9, vcc
	v_cndmask_b32_e32 v16, v96, v8, vcc
	scratch_store_dwordx4 off, v[8:11], off offset:1396 ; 16-byte Folded Spill
	s_nop 0
	scratch_store_dwordx4 off, v[12:15], off offset:1412 ; 16-byte Folded Spill
	scratch_store_dwordx4 off, v[16:19], off offset:1428 ; 16-byte Folded Spill
	scratch_store_dwordx4 off, v[20:23], off offset:1444 ; 16-byte Folded Spill
	scratch_store_dwordx4 off, v[24:27], off offset:1460 ; 16-byte Folded Spill
	scratch_store_dwordx4 off, v[28:31], off offset:1476 ; 16-byte Folded Spill
	scratch_store_dwordx4 off, v[32:35], off offset:1492 ; 16-byte Folded Spill
	scratch_store_dwordx4 off, v[36:39], off offset:1508 ; 16-byte Folded Spill
	v_mov_b32_e32 v0, -1
	v_cndmask_b32_e64 v107, v90, v7, s[40:41]
	v_cndmask_b32_e64 v109, v91, v7, s[42:43]
	v_cndmask_b32_e64 v108, v86, v6, s[42:43]
	v_cndmask_b32_e64 v147, v92, v7, s[44:45]
	v_cndmask_b32_e64 v146, v87, v6, s[44:45]
	v_cndmask_b32_e32 v87, v101, v79, vcc
	v_cndmask_b32_e32 v86, v167, v78, vcc
	s_movk_i32 s10, 0x1174
	v_cndmask_b32_e64 v129, v129, v79, s[38:39]
	v_cndmask_b32_e64 v128, v128, v78, s[38:39]
	;; [unrolled: 1-line block ×9, first 2 shown]
	scratch_load_dword v15, off, off offset:112 ; 4-byte Folded Reload
	v_cmp_eq_u32_e64 s[8:9], 8, v20
	v_cndmask_b32_e64 v91, v144, v9, s[38:39]
	v_cndmask_b32_e64 v90, v136, v8, s[38:39]
	;; [unrolled: 1-line block ×9, first 2 shown]
	v_cndmask_b32_e32 v121, v67, v11, vcc
	v_cndmask_b32_e32 v120, v64, v10, vcc
	v_cndmask_b32_e64 v77, v65, v11, s[38:39]
	v_cndmask_b32_e64 v76, v63, v10, s[38:39]
	;; [unrolled: 1-line block ×7, first 2 shown]
	v_cmp_eq_u32_e32 vcc, 7, v20
	v_cmp_eq_u32_e64 s[4:5], 6, v20
	v_cmp_eq_u32_e64 s[6:7], 5, v20
	s_waitcnt vmcnt(0)
	scratch_store_dwordx4 off, v[0:3], off offset:2932 ; 16-byte Folded Spill
	s_nop 0
	scratch_store_dwordx4 off, v[4:7], off offset:2948 ; 16-byte Folded Spill
	scratch_store_dwordx4 off, v[8:11], off offset:2964 ; 16-byte Folded Spill
	;; [unrolled: 1-line block ×7, first 2 shown]
	v_cndmask_b32_e64 v16, v2, v6, s[8:9]
	scratch_store_dwordx4 off, v[0:3], off offset:3444 ; 16-byte Folded Spill
	s_nop 0
	scratch_store_dwordx4 off, v[4:7], off offset:3460 ; 16-byte Folded Spill
	scratch_store_dwordx4 off, v[8:11], off offset:3476 ; 16-byte Folded Spill
	;; [unrolled: 1-line block ×7, first 2 shown]
	v_cndmask_b32_e32 v17, v124, v7, vcc
	scratch_store_dwordx4 off, v[2:5], off offset:3060 ; 16-byte Folded Spill
	s_nop 0
	scratch_store_dwordx4 off, v[6:9], off offset:3076 ; 16-byte Folded Spill
	scratch_store_dwordx4 off, v[10:13], off offset:3092 ; 16-byte Folded Spill
	;; [unrolled: 1-line block ×7, first 2 shown]
	v_cndmask_b32_e32 v14, v3, v6, vcc
	scratch_store_dwordx4 off, v[0:3], off offset:3572 ; 16-byte Folded Spill
	s_nop 0
	scratch_store_dwordx4 off, v[4:7], off offset:3588 ; 16-byte Folded Spill
	scratch_store_dwordx4 off, v[8:11], off offset:3604 ; 16-byte Folded Spill
	scratch_store_dwordx4 off, v[12:15], off offset:3620 ; 16-byte Folded Spill
	scratch_store_dwordx4 off, v[16:19], off offset:3636 ; 16-byte Folded Spill
	scratch_store_dwordx4 off, v[20:23], off offset:3652 ; 16-byte Folded Spill
	scratch_store_dwordx4 off, v[24:27], off offset:3668 ; 16-byte Folded Spill
	scratch_store_dwordx4 off, v[28:31], off offset:3684 ; 16-byte Folded Spill
	v_cndmask_b32_e64 v13, v123, v7, s[4:5]
	scratch_store_dwordx4 off, v[0:3], off offset:3188 ; 16-byte Folded Spill
	s_nop 0
	scratch_store_dwordx4 off, v[4:7], off offset:3204 ; 16-byte Folded Spill
	scratch_store_dwordx4 off, v[8:11], off offset:3220 ; 16-byte Folded Spill
	scratch_store_dwordx4 off, v[12:15], off offset:3236 ; 16-byte Folded Spill
	scratch_store_dwordx4 off, v[16:19], off offset:3252 ; 16-byte Folded Spill
	scratch_store_dwordx4 off, v[20:23], off offset:3268 ; 16-byte Folded Spill
	scratch_store_dwordx4 off, v[24:27], off offset:3284 ; 16-byte Folded Spill
	scratch_store_dwordx4 off, v[28:31], off offset:3300 ; 16-byte Folded Spill
	v_cndmask_b32_e64 v14, v118, v6, s[4:5]
	;; [unrolled: 10-line block ×6, first 2 shown]
	scratch_store_dwordx4 off, v[0:3], off offset:2420 ; 16-byte Folded Spill
	s_nop 0
	scratch_store_dwordx4 off, v[4:7], off offset:2436 ; 16-byte Folded Spill
	scratch_store_dwordx4 off, v[8:11], off offset:2452 ; 16-byte Folded Spill
	scratch_store_dwordx4 off, v[12:15], off offset:2468 ; 16-byte Folded Spill
	scratch_store_dwordx4 off, v[16:19], off offset:2484 ; 16-byte Folded Spill
	scratch_store_dwordx4 off, v[20:23], off offset:2500 ; 16-byte Folded Spill
	scratch_store_dwordx4 off, v[24:27], off offset:2516 ; 16-byte Folded Spill
	scratch_store_dwordx4 off, v[28:31], off offset:2532 ; 16-byte Folded Spill
	v_cndmask_b32_e32 v17, v134, v9, vcc
	scratch_store_dwordx4 off, v[2:5], off offset:2036 ; 16-byte Folded Spill
	s_nop 0
	scratch_store_dwordx4 off, v[6:9], off offset:2052 ; 16-byte Folded Spill
	scratch_store_dwordx4 off, v[10:13], off offset:2068 ; 16-byte Folded Spill
	;; [unrolled: 1-line block ×7, first 2 shown]
	v_cndmask_b32_e32 v14, v130, v8, vcc
	scratch_store_dwordx4 off, v[0:3], off offset:2548 ; 16-byte Folded Spill
	s_nop 0
	scratch_store_dwordx4 off, v[4:7], off offset:2564 ; 16-byte Folded Spill
	scratch_store_dwordx4 off, v[8:11], off offset:2580 ; 16-byte Folded Spill
	scratch_store_dwordx4 off, v[12:15], off offset:2596 ; 16-byte Folded Spill
	scratch_store_dwordx4 off, v[16:19], off offset:2612 ; 16-byte Folded Spill
	scratch_store_dwordx4 off, v[20:23], off offset:2628 ; 16-byte Folded Spill
	scratch_store_dwordx4 off, v[24:27], off offset:2644 ; 16-byte Folded Spill
	scratch_store_dwordx4 off, v[28:31], off offset:2660 ; 16-byte Folded Spill
	v_cndmask_b32_e64 v13, v133, v9, s[4:5]
	scratch_store_dwordx4 off, v[0:3], off offset:2164 ; 16-byte Folded Spill
	s_nop 0
	scratch_store_dwordx4 off, v[4:7], off offset:2180 ; 16-byte Folded Spill
	scratch_store_dwordx4 off, v[8:11], off offset:2196 ; 16-byte Folded Spill
	scratch_store_dwordx4 off, v[12:15], off offset:2212 ; 16-byte Folded Spill
	scratch_store_dwordx4 off, v[16:19], off offset:2228 ; 16-byte Folded Spill
	scratch_store_dwordx4 off, v[20:23], off offset:2244 ; 16-byte Folded Spill
	scratch_store_dwordx4 off, v[24:27], off offset:2260 ; 16-byte Folded Spill
	scratch_store_dwordx4 off, v[28:31], off offset:2276 ; 16-byte Folded Spill
	v_cndmask_b32_e64 v14, v127, v8, s[4:5]
	;; [unrolled: 10-line block ×5, first 2 shown]
	scratch_store_dwordx4 off, v[4:7], s10  ; 16-byte Folded Spill
	s_nop 0
	scratch_store_dwordx4 off, v[8:11], s10 offset:16 ; 16-byte Folded Spill
	scratch_store_dwordx4 off, v[12:15], s10 offset:32 ; 16-byte Folded Spill
	;; [unrolled: 1-line block ×7, first 2 shown]
	v_cndmask_b32_e64 v18, v151, v78, s[8:9]
	s_movk_i32 s10, 0xff4
	scratch_store_dwordx4 off, v[2:5], off offset:1268 ; 16-byte Folded Spill
	s_nop 0
	scratch_store_dwordx4 off, v[6:9], off offset:1284 ; 16-byte Folded Spill
	scratch_store_dwordx4 off, v[10:13], off offset:1300 ; 16-byte Folded Spill
	;; [unrolled: 1-line block ×7, first 2 shown]
	v_cndmask_b32_e32 v19, v156, v79, vcc
	scratch_store_dwordx4 off, v[4:7], off offset:884 ; 16-byte Folded Spill
	s_nop 0
	scratch_store_dwordx4 off, v[8:11], off offset:900 ; 16-byte Folded Spill
	scratch_store_dwordx4 off, v[12:15], off offset:916 ; 16-byte Folded Spill
	scratch_store_dwordx4 off, v[16:19], off offset:932 ; 16-byte Folded Spill
	scratch_store_dwordx4 off, v[20:23], off offset:948 ; 16-byte Folded Spill
	scratch_store_dwordx4 off, v[24:27], off offset:964 ; 16-byte Folded Spill
	scratch_store_dwordx4 off, v[28:31], off offset:980 ; 16-byte Folded Spill
	scratch_store_dwordx4 off, v[32:35], off offset:996 ; 16-byte Folded Spill
	v_cndmask_b32_e32 v14, v150, v78, vcc
	scratch_store_dwordx4 off, v[0:3], off offset:1524 ; 16-byte Folded Spill
	s_nop 0
	scratch_store_dwordx4 off, v[4:7], off offset:1540 ; 16-byte Folded Spill
	scratch_store_dwordx4 off, v[8:11], off offset:1556 ; 16-byte Folded Spill
	scratch_store_dwordx4 off, v[12:15], off offset:1572 ; 16-byte Folded Spill
	scratch_store_dwordx4 off, v[16:19], off offset:1588 ; 16-byte Folded Spill
	scratch_store_dwordx4 off, v[20:23], off offset:1604 ; 16-byte Folded Spill
	scratch_store_dwordx4 off, v[24:27], off offset:1620 ; 16-byte Folded Spill
	scratch_store_dwordx4 off, v[28:31], off offset:1636 ; 16-byte Folded Spill
	v_cndmask_b32_e64 v19, v153, v79, s[4:5]
	scratch_store_dwordx4 off, v[6:9], off offset:1012 ; 16-byte Folded Spill
	s_nop 0
	scratch_store_dwordx4 off, v[10:13], off offset:1028 ; 16-byte Folded Spill
	scratch_store_dwordx4 off, v[14:17], off offset:1044 ; 16-byte Folded Spill
	scratch_store_dwordx4 off, v[18:21], off offset:1060 ; 16-byte Folded Spill
	scratch_store_dwordx4 off, v[22:25], off offset:1076 ; 16-byte Folded Spill
	scratch_store_dwordx4 off, v[26:29], off offset:1092 ; 16-byte Folded Spill
	scratch_store_dwordx4 off, v[30:33], off offset:1108 ; 16-byte Folded Spill
	scratch_store_dwordx4 off, v[34:37], off offset:1124 ; 16-byte Folded Spill
	v_cndmask_b32_e64 v14, v145, v78, s[4:5]
	;; [unrolled: 10-line block ×5, first 2 shown]
	scratch_store_dwordx4 off, v[0:3], s10  ; 16-byte Folded Spill
	s_nop 0
	scratch_store_dwordx4 off, v[4:7], s10 offset:16 ; 16-byte Folded Spill
	scratch_store_dwordx4 off, v[8:11], s10 offset:32 ; 16-byte Folded Spill
	scratch_store_dwordx4 off, v[12:15], s10 offset:48 ; 16-byte Folded Spill
	scratch_store_dwordx4 off, v[16:19], s10 offset:64 ; 16-byte Folded Spill
	scratch_store_dwordx4 off, v[20:23], s10 offset:80 ; 16-byte Folded Spill
	scratch_store_dwordx4 off, v[24:27], s10 offset:96 ; 16-byte Folded Spill
	scratch_store_dwordx4 off, v[28:31], s10 offset:112 ; 16-byte Folded Spill
	v_cndmask_b32_e64 v16, v58, v10, s[8:9]
	s_movk_i32 s8, 0x10f4
	scratch_store_dwordx4 off, v[0:3], s8   ; 16-byte Folded Spill
	s_nop 0
	scratch_store_dwordx4 off, v[4:7], s8 offset:16 ; 16-byte Folded Spill
	scratch_store_dwordx4 off, v[8:11], s8 offset:32 ; 16-byte Folded Spill
	;; [unrolled: 1-line block ×7, first 2 shown]
	v_cndmask_b32_e32 v17, v61, v11, vcc
	scratch_store_dwordx4 off, v[2:5], off offset:372 ; 16-byte Folded Spill
	s_nop 0
	scratch_store_dwordx4 off, v[6:9], off offset:388 ; 16-byte Folded Spill
	scratch_store_dwordx4 off, v[10:13], off offset:404 ; 16-byte Folded Spill
	;; [unrolled: 1-line block ×7, first 2 shown]
	v_cndmask_b32_e32 v14, v57, v10, vcc
	scratch_store_dwordx4 off, v[0:3], off offset:3956 ; 16-byte Folded Spill
	s_nop 0
	scratch_store_dwordx4 off, v[4:7], off offset:3972 ; 16-byte Folded Spill
	scratch_store_dwordx4 off, v[8:11], off offset:3988 ; 16-byte Folded Spill
	scratch_store_dwordx4 off, v[12:15], off offset:4004 ; 16-byte Folded Spill
	scratch_store_dwordx4 off, v[16:19], off offset:4020 ; 16-byte Folded Spill
	scratch_store_dwordx4 off, v[20:23], off offset:4036 ; 16-byte Folded Spill
	scratch_store_dwordx4 off, v[24:27], off offset:4052 ; 16-byte Folded Spill
	scratch_store_dwordx4 off, v[28:31], off offset:4068 ; 16-byte Folded Spill
	v_cndmask_b32_e64 v13, v60, v11, s[4:5]
	scratch_store_dwordx4 off, v[0:3], off offset:500 ; 16-byte Folded Spill
	s_nop 0
	scratch_store_dwordx4 off, v[4:7], off offset:516 ; 16-byte Folded Spill
	scratch_store_dwordx4 off, v[8:11], off offset:532 ; 16-byte Folded Spill
	scratch_store_dwordx4 off, v[12:15], off offset:548 ; 16-byte Folded Spill
	scratch_store_dwordx4 off, v[16:19], off offset:564 ; 16-byte Folded Spill
	scratch_store_dwordx4 off, v[20:23], off offset:580 ; 16-byte Folded Spill
	scratch_store_dwordx4 off, v[24:27], off offset:596 ; 16-byte Folded Spill
	scratch_store_dwordx4 off, v[28:31], off offset:612 ; 16-byte Folded Spill
	v_cndmask_b32_e64 v14, v56, v10, s[4:5]
	;; [unrolled: 10-line block ×4, first 2 shown]
	scratch_store_dwordx4 off, v[0:3], off offset:244 ; 16-byte Folded Spill
	s_nop 0
	scratch_store_dwordx4 off, v[4:7], off offset:260 ; 16-byte Folded Spill
	scratch_store_dwordx4 off, v[8:11], off offset:276 ; 16-byte Folded Spill
	;; [unrolled: 1-line block ×7, first 2 shown]
.LBB0_39:
	s_or_b64 exec, exec, s[54:55]
	scratch_store_dword off, v0, off offset:96
	s_mov_b64 s[16:17], exec
	s_movk_i32 s6, 0x1174
	scratch_load_dwordx4 v[22:25], off, s6  ; 16-byte Folded Reload
	scratch_load_dwordx4 v[26:29], off, s6 offset:16 ; 16-byte Folded Reload
	scratch_load_dwordx4 v[30:33], off, s6 offset:32 ; 16-byte Folded Reload
	;; [unrolled: 1-line block ×7, first 2 shown]
	s_and_b64 s[4:5], s[16:17], s[0:1]
	s_waitcnt vmcnt(3)
	v_mov_b32_e32 v35, v39
	s_mov_b64 exec, s[4:5]
	s_cbranch_execz .LBB0_48
; %bb.40:
	s_mov_b64 s[18:19], 0
	s_branch .LBB0_42
.LBB0_41:                               ;   in Loop: Header=BB0_42 Depth=1
	s_or_b64 exec, exec, s[6:7]
	s_waitcnt vmcnt(0)
	v_cmp_gt_i32_e32 vcc, 0, v6
	s_or_b64 s[18:19], vcc, s[18:19]
	v_mov_b32_e32 v137, v6
	s_andn2_b64 exec, exec, s[18:19]
	s_cbranch_execz .LBB0_48
.LBB0_42:                               ; =>This Inner Loop Header: Depth=1
	scratch_load_dwordx4 v[36:39], off, off offset:1396 ; 16-byte Folded Reload
	scratch_load_dwordx4 v[40:43], off, off offset:1412 ; 16-byte Folded Reload
	scratch_load_dwordx4 v[44:47], off, off offset:1428 ; 16-byte Folded Reload
	scratch_load_dwordx4 v[48:51], off, off offset:1444 ; 16-byte Folded Reload
	scratch_load_dwordx4 v[52:55], off, off offset:1460 ; 16-byte Folded Reload
	scratch_load_dwordx4 v[56:59], off, off offset:1476 ; 16-byte Folded Reload
	scratch_load_dwordx4 v[60:63], off, off offset:1492 ; 16-byte Folded Reload
	scratch_load_dwordx4 v[64:67], off, off offset:1508 ; 16-byte Folded Reload
	v_cmp_eq_u32_e32 vcc, 1, v137
	v_cmp_eq_u32_e64 s[4:5], 2, v137
	v_cmp_eq_u32_e64 s[6:7], 3, v137
	v_cndmask_b32_e32 v6, v105, v115, vcc
	v_cndmask_b32_e64 v6, v6, v113, s[4:5]
	v_cndmask_b32_e64 v6, v6, v91, s[6:7]
	v_cmp_eq_u32_e64 s[8:9], 4, v137
	v_cmp_eq_u32_e64 s[10:11], 5, v137
	;; [unrolled: 1-line block ×4, first 2 shown]
	v_cndmask_b32_e32 v7, v104, v114, vcc
	v_cndmask_b32_e64 v7, v7, v112, s[4:5]
	v_cndmask_b32_e64 v7, v7, v90, s[6:7]
	v_cmp_eq_u32_e32 vcc, 8, v137
	s_mov_b64 s[4:5], 0
	s_waitcnt vmcnt(5)
	v_mov_b64_e32 v[8:9], v[44:45]
	scratch_load_dwordx4 v[36:39], off, off offset:2292 ; 16-byte Folded Reload
	scratch_load_dwordx4 v[40:43], off, off offset:2308 ; 16-byte Folded Reload
	;; [unrolled: 1-line block ×8, first 2 shown]
	v_cndmask_b32_e64 v6, v6, v9, s[8:9]
	v_cndmask_b32_e64 v7, v7, v8, s[8:9]
	s_waitcnt vmcnt(5)
	v_cndmask_b32_e64 v6, v6, v47, s[10:11]
	scratch_load_dwordx4 v[36:39], off, off offset:2164 ; 16-byte Folded Reload
	scratch_load_dwordx4 v[40:43], off, off offset:2180 ; 16-byte Folded Reload
	scratch_load_dwordx4 v[44:47], off, off offset:2196 ; 16-byte Folded Reload
	scratch_load_dwordx4 v[48:51], off, off offset:2212 ; 16-byte Folded Reload
	scratch_load_dwordx4 v[52:55], off, off offset:2228 ; 16-byte Folded Reload
	scratch_load_dwordx4 v[56:59], off, off offset:2244 ; 16-byte Folded Reload
	scratch_load_dwordx4 v[60:63], off, off offset:2260 ; 16-byte Folded Reload
	scratch_load_dwordx4 v[64:67], off, off offset:2276 ; 16-byte Folded Reload
	s_waitcnt vmcnt(4)
	v_cndmask_b32_e64 v6, v6, v49, s[12:13]
	scratch_load_dwordx4 v[36:39], off, off offset:2036 ; 16-byte Folded Reload
	scratch_load_dwordx4 v[40:43], off, off offset:2052 ; 16-byte Folded Reload
	scratch_load_dwordx4 v[44:47], off, off offset:2068 ; 16-byte Folded Reload
	scratch_load_dwordx4 v[48:51], off, off offset:2084 ; 16-byte Folded Reload
	scratch_load_dwordx4 v[52:55], off, off offset:2100 ; 16-byte Folded Reload
	scratch_load_dwordx4 v[56:59], off, off offset:2116 ; 16-byte Folded Reload
	scratch_load_dwordx4 v[60:63], off, off offset:2132 ; 16-byte Folded Reload
	scratch_load_dwordx4 v[64:67], off, off offset:2148 ; 16-byte Folded Reload
	;; [unrolled: 10-line block ×6, first 2 shown]
	s_waitcnt vmcnt(3)
	v_cndmask_b32_e32 v7, v6, v53, vcc
	scratch_load_dwordx4 v[36:39], off, off offset:2420 ; 16-byte Folded Reload
	scratch_load_dwordx4 v[40:43], off, off offset:2436 ; 16-byte Folded Reload
	;; [unrolled: 1-line block ×8, first 2 shown]
	s_waitcnt vmcnt(3)
	v_cndmask_b32_e32 v6, v8, v52, vcc
	v_lshl_add_u32 v8, v137, 2, v15
	v_cmp_ngt_f64_e32 vcc, 0, v[6:7]
	scratch_load_dword v6, v8, off
                                        ; implicit-def: $vgpr7
	s_and_saveexec_b64 s[6:7], vcc
	s_xor_b64 s[6:7], exec, s[6:7]
	s_cbranch_execnz .LBB0_45
; %bb.43:                               ;   in Loop: Header=BB0_42 Depth=1
	s_andn2_saveexec_b64 s[6:7], s[6:7]
	s_cbranch_execnz .LBB0_46
.LBB0_44:                               ;   in Loop: Header=BB0_42 Depth=1
	s_or_b64 exec, exec, s[6:7]
	s_and_saveexec_b64 s[6:7], s[4:5]
	s_cbranch_execz .LBB0_41
	s_branch .LBB0_47
.LBB0_45:                               ;   in Loop: Header=BB0_42 Depth=1
	scratch_load_dword v7, off, off offset:96
                                        ; implicit-def: $vgpr8
	s_waitcnt vmcnt(0)
	v_cmp_eq_u32_e32 vcc, -1, v7
	v_mov_b32_e32 v7, 0x60
	s_and_b64 s[4:5], vcc, exec
	s_andn2_saveexec_b64 s[6:7], s[6:7]
	s_cbranch_execz .LBB0_44
.LBB0_46:                               ;   in Loop: Header=BB0_42 Depth=1
	scratch_load_dword v9, off, off offset:100
	v_mov_b32_e32 v7, 0x64
	s_or_b64 s[4:5], s[4:5], exec
	s_waitcnt vmcnt(0)
	scratch_store_dword v8, v9, off
	s_or_b64 exec, exec, s[6:7]
	s_and_saveexec_b64 s[6:7], s[4:5]
	s_cbranch_execz .LBB0_41
.LBB0_47:                               ;   in Loop: Header=BB0_42 Depth=1
	scratch_store_dword v7, v137, off
	s_branch .LBB0_41
.LBB0_48:
	s_or_b64 exec, exec, s[16:17]
	s_and_saveexec_b64 s[4:5], s[2:3]
	s_cbranch_execz .LBB0_50
; %bb.49:
	v_cmp_gt_f64_e32 vcc, 0, v[102:103]
	v_lshlrev_b32_e32 v2, 2, v97
	v_mov_b32_e32 v3, 16
	v_cmp_gt_f64_e64 s[2:3], 0, v[140:141]
	s_and_b64 s[0:1], s[0:1], vcc
	v_add3_u32 v2, v3, v2, 40
	v_lshlrev_b32_e32 v6, 2, v100
	s_or_b64 s[0:1], s[2:3], s[0:1]
	v_lshlrev_b32_e32 v5, 2, v20
	v_add3_u32 v6, v3, v6, 40
	v_cndmask_b32_e64 v4, v142, -1, s[0:1]
	v_add3_u32 v3, v3, v5, 40
	scratch_store_dword v2, v100, off
	scratch_store_dword v6, v20, off
	scratch_store_dword v3, v4, off
.LBB0_50:
	s_or_b64 exec, exec, s[4:5]
	scratch_load_dword v132, off, off offset:96
	scratch_load_dwordx4 v[36:39], off, off offset:1140 ; 16-byte Folded Reload
	scratch_load_dwordx4 v[40:43], off, off offset:1156 ; 16-byte Folded Reload
	;; [unrolled: 1-line block ×8, first 2 shown]
	v_mov_b64_e32 v[100:101], -1
	v_mov_b32_e32 v133, -1
	v_mov_b32_e32 v96, -1
	v_mov_b64_e32 v[130:131], 0
	v_mov_b64_e32 v[8:9], v[100:101]
	s_waitcnt vmcnt(8)
	v_cmp_eq_u32_e32 vcc, 1, v132
	s_nop 1
	v_cndmask_b32_e32 v2, v161, v155, vcc
	v_cmp_eq_u32_e64 s[0:1], 2, v132
	v_cmp_eq_u32_e64 s[2:3], 3, v132
	v_cndmask_b32_e32 v3, v160, v154, vcc
	v_cndmask_b32_e64 v2, v2, v111, s[0:1]
	v_cndmask_b32_e64 v2, v2, v129, s[2:3]
	v_cmp_eq_u32_e32 vcc, 4, v132
	v_cndmask_b32_e64 v3, v3, v110, s[0:1]
	v_cmp_eq_u32_e64 s[0:1], 5, v132
	v_cndmask_b32_e32 v2, v2, v87, vcc
	v_cndmask_b32_e64 v3, v3, v128, s[2:3]
	s_waitcnt vmcnt(5)
	v_cndmask_b32_e64 v2, v2, v47, s[0:1]
	scratch_load_dwordx4 v[36:39], off, off offset:1012 ; 16-byte Folded Reload
	scratch_load_dwordx4 v[40:43], off, off offset:1028 ; 16-byte Folded Reload
	;; [unrolled: 1-line block ×8, first 2 shown]
	v_cndmask_b32_e32 v3, v3, v86, vcc
	v_cmp_eq_u32_e32 vcc, 6, v132
	s_waitcnt vmcnt(4)
	s_nop 0
	v_cndmask_b32_e32 v2, v2, v49, vcc
	scratch_load_dwordx4 v[36:39], off, off offset:1780 ; 16-byte Folded Reload
	scratch_load_dwordx4 v[40:43], off, off offset:1796 ; 16-byte Folded Reload
	;; [unrolled: 1-line block ×8, first 2 shown]
	s_waitcnt vmcnt(5)
	v_cndmask_b32_e64 v3, v3, v46, s[0:1]
	scratch_load_dwordx4 v[36:39], off, off offset:884 ; 16-byte Folded Reload
	scratch_load_dwordx4 v[40:43], off, off offset:900 ; 16-byte Folded Reload
	;; [unrolled: 1-line block ×8, first 2 shown]
	v_cmp_eq_u32_e64 s[0:1], 7, v132
	s_waitcnt vmcnt(4)
	s_nop 0
	v_cndmask_b32_e64 v2, v2, v51, s[0:1]
	scratch_load_dwordx4 v[36:39], off, off offset:1652 ; 16-byte Folded Reload
	scratch_load_dwordx4 v[40:43], off, off offset:1668 ; 16-byte Folded Reload
	;; [unrolled: 1-line block ×8, first 2 shown]
	s_waitcnt vmcnt(4)
	v_cndmask_b32_e32 v3, v3, v48, vcc
	scratch_load_dwordx4 v[36:39], off, off offset:1524 ; 16-byte Folded Reload
	scratch_load_dwordx4 v[40:43], off, off offset:1540 ; 16-byte Folded Reload
	;; [unrolled: 1-line block ×8, first 2 shown]
	v_cmp_eq_u32_e32 vcc, 8, v132
	s_waitcnt vmcnt(4)
	v_cndmask_b32_e64 v4, v3, v50, s[0:1]
	scratch_load_dwordx4 v[36:39], off, off offset:1268 ; 16-byte Folded Reload
	scratch_load_dwordx4 v[40:43], off, off offset:1284 ; 16-byte Folded Reload
	;; [unrolled: 1-line block ×8, first 2 shown]
	v_cndmask_b32_e32 v125, v2, v35, vcc
	v_cmp_lt_i32_e64 s[0:1], -1, v132
	s_waitcnt vmcnt(3)
	v_cndmask_b32_e32 v124, v4, v52, vcc
	s_and_saveexec_b64 s[10:11], s[0:1]
	s_cbranch_execz .LBB0_54
; %bb.51:
	scratch_load_dwordx4 v[36:39], off, off offset:884 ; 16-byte Folded Reload
	scratch_load_dwordx4 v[40:43], off, off offset:900 ; 16-byte Folded Reload
	;; [unrolled: 1-line block ×8, first 2 shown]
	s_mov_b64 s[12:13], 0
	v_mov_b32_e32 v133, -1
	v_mov_b32_e32 v7, v132
	v_mov_b32_e32 v100, -1
	v_mov_b32_e32 v8, -1
	;; [unrolled: 1-line block ×3, first 2 shown]
	v_mov_b64_e32 v[10:11], v[124:125]
	s_waitcnt vmcnt(4)
	v_mov_b32_e32 v19, v51
	scratch_load_dwordx4 v[36:39], off, off offset:1012 ; 16-byte Folded Reload
	scratch_load_dwordx4 v[40:43], off, off offset:1028 ; 16-byte Folded Reload
	scratch_load_dwordx4 v[44:47], off, off offset:1044 ; 16-byte Folded Reload
	scratch_load_dwordx4 v[48:51], off, off offset:1060 ; 16-byte Folded Reload
	scratch_load_dwordx4 v[52:55], off, off offset:1076 ; 16-byte Folded Reload
	scratch_load_dwordx4 v[56:59], off, off offset:1092 ; 16-byte Folded Reload
	scratch_load_dwordx4 v[60:63], off, off offset:1108 ; 16-byte Folded Reload
	scratch_load_dwordx4 v[64:67], off, off offset:1124 ; 16-byte Folded Reload
	s_waitcnt vmcnt(4)
	v_mov_b32_e32 v21, v49
	scratch_load_dwordx4 v[36:39], off, off offset:1140 ; 16-byte Folded Reload
	scratch_load_dwordx4 v[40:43], off, off offset:1156 ; 16-byte Folded Reload
	scratch_load_dwordx4 v[44:47], off, off offset:1172 ; 16-byte Folded Reload
	scratch_load_dwordx4 v[48:51], off, off offset:1188 ; 16-byte Folded Reload
	scratch_load_dwordx4 v[52:55], off, off offset:1204 ; 16-byte Folded Reload
	scratch_load_dwordx4 v[56:59], off, off offset:1220 ; 16-byte Folded Reload
	scratch_load_dwordx4 v[60:63], off, off offset:1236 ; 16-byte Folded Reload
	scratch_load_dwordx4 v[64:67], off, off offset:1252 ; 16-byte Folded Reload
	;; [unrolled: 10-line block ×6, first 2 shown]
	s_waitcnt vmcnt(5)
	v_mov_b32_e32 v24, v46
.LBB0_52:                               ; =>This Inner Loop Header: Depth=1
	s_waitcnt vmcnt(0)
	v_lshl_add_u32 v4, v7, 2, v15
	scratch_load_dword v9, v4, off
	v_mov_b64_e32 v[130:131], v[10:11]
	s_waitcnt vmcnt(0)
	v_cmp_gt_i32_e32 vcc, 0, v9
	s_nop 1
	v_cndmask_b32_e32 v13, v9, v132, vcc
	v_cmp_eq_u32_e64 s[2:3], 1, v13
	v_cmp_eq_u32_e64 s[4:5], 2, v13
	;; [unrolled: 1-line block ×3, first 2 shown]
	v_cndmask_b32_e64 v4, v161, v155, s[2:3]
	v_cndmask_b32_e64 v5, v160, v154, s[2:3]
	;; [unrolled: 1-line block ×5, first 2 shown]
	v_cmp_eq_u32_e64 s[2:3], 4, v13
	v_cndmask_b32_e64 v5, v5, v128, s[6:7]
	v_cmp_eq_u32_e64 s[4:5], 5, v13
	v_cndmask_b32_e64 v4, v4, v87, s[2:3]
	v_cndmask_b32_e64 v5, v5, v86, s[2:3]
	;; [unrolled: 1-line block ×3, first 2 shown]
	v_cmp_eq_u32_e64 s[2:3], 6, v13
	v_cndmask_b32_e64 v5, v5, v24, s[4:5]
	v_cmp_eq_u32_e64 s[4:5], 7, v13
	v_cndmask_b32_e64 v4, v4, v21, s[2:3]
	v_cndmask_b32_e64 v5, v5, v12, s[2:3]
	;; [unrolled: 1-line block ×4, first 2 shown]
	v_cmp_eq_u32_e64 s[2:3], 8, v13
	v_cmp_gt_f64_e64 s[4:5], 0, v[130:131]
	s_nop 0
	v_cndmask_b32_e64 v15, v4, v35, s[2:3]
	v_cndmask_b32_e64 v14, v5, v20, s[2:3]
	v_cmp_gt_f64_e64 s[6:7], 0, v[14:15]
	v_cmp_le_f64_e64 s[8:9], 0, v[14:15]
	v_mov_b64_e32 v[10:11], v[14:15]
	scratch_load_dword v15, off, off offset:112 ; 4-byte Folded Reload
	v_cmp_le_f64_e64 s[2:3], 0, v[130:131]
	s_and_b64 s[2:3], s[2:3], s[6:7]
	s_and_b64 s[4:5], s[4:5], s[8:9]
	v_cndmask_b32_e64 v8, v8, v13, s[2:3]
	v_cndmask_b32_e64 v96, v96, v13, s[4:5]
	;; [unrolled: 1-line block ×4, first 2 shown]
	s_or_b64 s[12:13], vcc, s[12:13]
	v_mov_b32_e32 v7, v9
	s_andn2_b64 exec, exec, s[12:13]
	s_cbranch_execnz .LBB0_52
; %bb.53:
	s_or_b64 exec, exec, s[12:13]
.LBB0_54:
	s_or_b64 exec, exec, s[10:11]
	v_cmp_lt_i32_e64 s[2:3], -1, v133
	v_mov_b32_e32 v0, -1
	v_mov_b32_e32 v97, -1
	;; [unrolled: 1-line block ×3, first 2 shown]
	s_and_saveexec_b64 s[54:55], s[2:3]
	s_cbranch_execz .LBB0_56
; %bb.55:
	scratch_load_dwordx4 v[36:39], off, off offset:1140 ; 16-byte Folded Reload
	scratch_load_dwordx4 v[40:43], off, off offset:1156 ; 16-byte Folded Reload
	;; [unrolled: 1-line block ×8, first 2 shown]
	v_cmp_eq_u32_e64 s[4:5], 1, v8
	v_cmp_eq_u32_e64 s[6:7], 2, v8
	;; [unrolled: 1-line block ×3, first 2 shown]
	v_cndmask_b32_e64 v7, v161, v155, s[4:5]
	v_cndmask_b32_e64 v7, v7, v111, s[6:7]
	;; [unrolled: 1-line block ×3, first 2 shown]
	v_cmp_eq_u32_e64 s[10:11], 4, v8
	v_cmp_eq_u32_e64 s[12:13], 5, v8
	;; [unrolled: 1-line block ×3, first 2 shown]
	v_cndmask_b32_e64 v7, v7, v87, s[10:11]
	v_cmp_eq_u32_e64 s[16:17], 7, v8
	v_cmp_eq_u32_e64 s[18:19], 8, v8
	v_mov_b32_e32 v89, v35
	v_cndmask_b32_e64 v8, v160, v154, s[4:5]
	v_cndmask_b32_e64 v8, v8, v110, s[6:7]
	;; [unrolled: 1-line block ×4, first 2 shown]
	v_cmp_eq_u32_e64 s[20:21], 1, v133
	v_cmp_eq_u32_e64 s[22:23], 2, v133
	v_cmp_eq_u32_e64 s[24:25], 3, v133
	v_cmp_eq_u32_e64 s[26:27], 4, v133
	v_cmp_eq_u32_e64 s[28:29], 5, v133
	v_cmp_eq_u32_e64 s[30:31], 6, v133
	v_cmp_eq_u32_e64 s[34:35], 7, v133
	v_cmp_eq_u32_e64 s[36:37], 8, v133
	s_waitcnt vmcnt(5)
	v_mov_b32_e32 v83, v47
	scratch_load_dwordx4 v[36:39], off, off offset:1012 ; 16-byte Folded Reload
	scratch_load_dwordx4 v[40:43], off, off offset:1028 ; 16-byte Folded Reload
	scratch_load_dwordx4 v[44:47], off, off offset:1044 ; 16-byte Folded Reload
	scratch_load_dwordx4 v[48:51], off, off offset:1060 ; 16-byte Folded Reload
	scratch_load_dwordx4 v[52:55], off, off offset:1076 ; 16-byte Folded Reload
	scratch_load_dwordx4 v[56:59], off, off offset:1092 ; 16-byte Folded Reload
	scratch_load_dwordx4 v[60:63], off, off offset:1108 ; 16-byte Folded Reload
	scratch_load_dwordx4 v[64:67], off, off offset:1124 ; 16-byte Folded Reload
	v_cndmask_b32_e64 v7, v7, v83, s[12:13]
	s_waitcnt vmcnt(4)
	v_mov_b32_e32 v79, v49
	scratch_load_dwordx4 v[36:39], off, off offset:884 ; 16-byte Folded Reload
	scratch_load_dwordx4 v[40:43], off, off offset:900 ; 16-byte Folded Reload
	scratch_load_dwordx4 v[44:47], off, off offset:916 ; 16-byte Folded Reload
	scratch_load_dwordx4 v[48:51], off, off offset:932 ; 16-byte Folded Reload
	scratch_load_dwordx4 v[52:55], off, off offset:948 ; 16-byte Folded Reload
	scratch_load_dwordx4 v[56:59], off, off offset:964 ; 16-byte Folded Reload
	scratch_load_dwordx4 v[60:63], off, off offset:980 ; 16-byte Folded Reload
	scratch_load_dwordx4 v[64:67], off, off offset:996 ; 16-byte Folded Reload
	v_cndmask_b32_e64 v7, v7, v79, s[14:15]
	s_waitcnt vmcnt(4)
	v_mov_b32_e32 v93, v51
	scratch_load_dwordx4 v[36:39], off, off offset:1780 ; 16-byte Folded Reload
	scratch_load_dwordx4 v[40:43], off, off offset:1796 ; 16-byte Folded Reload
	scratch_load_dwordx4 v[44:47], off, off offset:1812 ; 16-byte Folded Reload
	scratch_load_dwordx4 v[48:51], off, off offset:1828 ; 16-byte Folded Reload
	scratch_load_dwordx4 v[52:55], off, off offset:1844 ; 16-byte Folded Reload
	scratch_load_dwordx4 v[56:59], off, off offset:1860 ; 16-byte Folded Reload
	scratch_load_dwordx4 v[60:63], off, off offset:1876 ; 16-byte Folded Reload
	scratch_load_dwordx4 v[64:67], off, off offset:1892 ; 16-byte Folded Reload
	v_cndmask_b32_e64 v7, v7, v93, s[16:17]
	v_cndmask_b32_e64 v99, v7, v35, s[18:19]
	v_cndmask_b32_e64 v7, v161, v155, s[20:21]
	v_cndmask_b32_e64 v7, v7, v111, s[22:23]
	v_cndmask_b32_e64 v7, v7, v129, s[24:25]
	v_cndmask_b32_e64 v7, v7, v87, s[26:27]
	v_cndmask_b32_e64 v7, v7, v83, s[28:29]
	v_cndmask_b32_e64 v7, v7, v79, s[30:31]
	v_cndmask_b32_e64 v7, v7, v93, s[34:35]
	v_cndmask_b32_e64 v1, v7, v89, s[36:37]
	v_cndmask_b32_e64 v7, v147, v109, s[20:21]
	v_cndmask_b32_e64 v7, v7, v107, s[22:23]
	s_waitcnt vmcnt(5)
	v_mov_b32_e32 v82, v46
	scratch_load_dwordx4 v[36:39], off, off offset:1652 ; 16-byte Folded Reload
	scratch_load_dwordx4 v[40:43], off, off offset:1668 ; 16-byte Folded Reload
	scratch_load_dwordx4 v[44:47], off, off offset:1684 ; 16-byte Folded Reload
	scratch_load_dwordx4 v[48:51], off, off offset:1700 ; 16-byte Folded Reload
	scratch_load_dwordx4 v[52:55], off, off offset:1716 ; 16-byte Folded Reload
	scratch_load_dwordx4 v[56:59], off, off offset:1732 ; 16-byte Folded Reload
	scratch_load_dwordx4 v[60:63], off, off offset:1748 ; 16-byte Folded Reload
	scratch_load_dwordx4 v[64:67], off, off offset:1764 ; 16-byte Folded Reload
	v_cndmask_b32_e64 v8, v8, v82, s[12:13]
	s_waitcnt vmcnt(4)
	v_mov_b32_e32 v92, v48
	scratch_load_dwordx4 v[36:39], off, off offset:1524 ; 16-byte Folded Reload
	scratch_load_dwordx4 v[40:43], off, off offset:1540 ; 16-byte Folded Reload
	scratch_load_dwordx4 v[44:47], off, off offset:1556 ; 16-byte Folded Reload
	scratch_load_dwordx4 v[48:51], off, off offset:1572 ; 16-byte Folded Reload
	scratch_load_dwordx4 v[52:55], off, off offset:1588 ; 16-byte Folded Reload
	scratch_load_dwordx4 v[56:59], off, off offset:1604 ; 16-byte Folded Reload
	scratch_load_dwordx4 v[60:63], off, off offset:1620 ; 16-byte Folded Reload
	scratch_load_dwordx4 v[64:67], off, off offset:1636 ; 16-byte Folded Reload
	v_cndmask_b32_e64 v8, v8, v92, s[14:15]
	;; [unrolled: 11-line block ×4, first 2 shown]
	v_cndmask_b32_e64 v8, v160, v154, s[20:21]
	v_cndmask_b32_e64 v8, v8, v110, s[22:23]
	;; [unrolled: 1-line block ×8, first 2 shown]
	v_add_f64 v[8:9], -v[98:99], 0
	v_add_f64 v[10:11], v[0:1], -v[98:99]
	v_div_scale_f64 v[22:23], s[38:39], v[10:11], v[10:11], v[8:9]
	v_rcp_f64_e32 v[24:25], v[22:23]
	s_waitcnt vmcnt(6)
	v_mov_b64_e32 v[30:31], v[50:51]
	scratch_load_dwordx4 v[32:35], off, off offset:3316 ; 16-byte Folded Reload
	scratch_load_dwordx4 v[36:39], off, off offset:3332 ; 16-byte Folded Reload
	scratch_load_dwordx4 v[40:43], off, off offset:3348 ; 16-byte Folded Reload
	scratch_load_dwordx4 v[44:47], off, off offset:3364 ; 16-byte Folded Reload
	scratch_load_dwordx4 v[48:51], off, off offset:3380 ; 16-byte Folded Reload
	scratch_load_dwordx4 v[52:55], off, off offset:3396 ; 16-byte Folded Reload
	scratch_load_dwordx4 v[56:59], off, off offset:3412 ; 16-byte Folded Reload
	scratch_load_dwordx4 v[60:63], off, off offset:3428 ; 16-byte Folded Reload
	v_fma_f64 v[26:27], -v[22:23], v[24:25], 1.0
	v_fmac_f64_e32 v[24:25], v[24:25], v[26:27]
	v_fma_f64 v[26:27], -v[22:23], v[24:25], 1.0
	v_fmac_f64_e32 v[24:25], v[24:25], v[26:27]
	v_div_scale_f64 v[26:27], vcc, v[8:9], v[10:11], v[8:9]
	v_mul_f64 v[28:29], v[26:27], v[24:25]
	v_fma_f64 v[22:23], -v[22:23], v[28:29], v[26:27]
	v_cndmask_b32_e64 v7, v7, v31, s[24:25]
	s_nop 0
	v_div_fmas_f64 v[22:23], v[22:23], v[24:25], v[28:29]
	v_div_fixup_f64 v[94:95], v[22:23], v[10:11], v[8:9]
	v_cndmask_b32_e64 v10, v146, v108, s[20:21]
	v_cndmask_b32_e64 v10, v10, v106, s[22:23]
	;; [unrolled: 1-line block ×5, first 2 shown]
	v_add_f64 v[150:151], -v[94:95], 1.0
	v_mul_f64 v[126:127], v[98:99], v[150:151]
	v_fmac_f64_e32 v[126:127], v[0:1], v[94:95]
	s_waitcnt vmcnt(5)
	v_mov_b32_e32 v19, v43
	scratch_load_dwordx4 v[32:35], off, off offset:3188 ; 16-byte Folded Reload
	scratch_load_dwordx4 v[36:39], off, off offset:3204 ; 16-byte Folded Reload
	scratch_load_dwordx4 v[40:43], off, off offset:3220 ; 16-byte Folded Reload
	scratch_load_dwordx4 v[44:47], off, off offset:3236 ; 16-byte Folded Reload
	scratch_load_dwordx4 v[48:51], off, off offset:3252 ; 16-byte Folded Reload
	scratch_load_dwordx4 v[52:55], off, off offset:3268 ; 16-byte Folded Reload
	scratch_load_dwordx4 v[56:59], off, off offset:3284 ; 16-byte Folded Reload
	scratch_load_dwordx4 v[60:63], off, off offset:3300 ; 16-byte Folded Reload
	v_cndmask_b32_e64 v7, v7, v19, s[28:29]
	s_waitcnt vmcnt(4)
	v_mov_b32_e32 v13, v45
	scratch_load_dwordx4 v[32:35], off, off offset:3060 ; 16-byte Folded Reload
	scratch_load_dwordx4 v[36:39], off, off offset:3076 ; 16-byte Folded Reload
	scratch_load_dwordx4 v[40:43], off, off offset:3092 ; 16-byte Folded Reload
	scratch_load_dwordx4 v[44:47], off, off offset:3108 ; 16-byte Folded Reload
	scratch_load_dwordx4 v[48:51], off, off offset:3124 ; 16-byte Folded Reload
	scratch_load_dwordx4 v[52:55], off, off offset:3140 ; 16-byte Folded Reload
	scratch_load_dwordx4 v[56:59], off, off offset:3156 ; 16-byte Folded Reload
	scratch_load_dwordx4 v[60:63], off, off offset:3172 ; 16-byte Folded Reload
	v_cndmask_b32_e64 v7, v7, v13, s[30:31]
	;; [unrolled: 11-line block ×6, first 2 shown]
	s_waitcnt vmcnt(3)
	v_mov_b32_e32 v17, v49
	scratch_load_dwordx4 v[32:35], off, off offset:3444 ; 16-byte Folded Reload
	scratch_load_dwordx4 v[36:39], off, off offset:3460 ; 16-byte Folded Reload
	;; [unrolled: 1-line block ×8, first 2 shown]
	scratch_load_dword v97, off, off offset:100
	v_cndmask_b32_e64 v23, v7, v17, s[36:37]
	v_cndmask_b32_e64 v7, v147, v109, s[4:5]
	;; [unrolled: 1-line block ×12, first 2 shown]
	s_waitcnt vmcnt(4)
	v_mov_b32_e32 v16, v48
	v_cndmask_b32_e64 v22, v10, v16, s[36:37]
	v_cndmask_b32_e64 v10, v146, v108, s[4:5]
	;; [unrolled: 1-line block ×9, first 2 shown]
	v_mul_f64 v[136:137], v[10:11], v[150:151]
	v_fmac_f64_e32 v[136:137], v[22:23], v[94:95]
	s_waitcnt vmcnt(0)
	v_cmp_eq_u32_e64 s[40:41], 8, v97
	v_cmp_eq_u32_e64 s[42:43], 7, v97
	;; [unrolled: 1-line block ×3, first 2 shown]
	v_cndmask_b32_e64 v2, v16, v136, s[40:41]
	scratch_store_dword off, v2, off offset:3444 ; 4-byte Folded Spill
	v_cndmask_b32_e64 v2, v14, v136, s[42:43]
	scratch_store_dword off, v2, off offset:3572 ; 4-byte Folded Spill
	v_cndmask_b32_e64 v2, v12, v136, s[44:45]
	v_cmp_eq_u32_e64 s[46:47], 5, v97
	scratch_store_dword off, v2, off offset:3700 ; 4-byte Folded Spill
	v_cmp_eq_u32_e64 s[38:39], 3, v97
	v_cndmask_b32_e64 v2, v18, v136, s[46:47]
	scratch_store_dword off, v2, off offset:3828 ; 4-byte Folded Spill
	v_cndmask_b32_e64 v2, v17, v137, s[40:41]
	scratch_store_dword off, v2, off offset:2932 ; 4-byte Folded Spill
	;; [unrolled: 2-line block ×4, first 2 shown]
	scratch_load_dwordx4 v[34:37], off, off offset:1396 ; 16-byte Folded Reload
	scratch_load_dwordx4 v[38:41], off, off offset:1412 ; 16-byte Folded Reload
	;; [unrolled: 1-line block ×8, first 2 shown]
	v_cndmask_b32_e64 v85, v30, v136, s[38:39]
	v_cndmask_b32_e64 v88, v31, v137, s[38:39]
	;; [unrolled: 1-line block ×6, first 2 shown]
	v_cmp_eq_u32_e32 vcc, 4, v97
	v_cndmask_b32_e64 v119, v128, v126, s[38:39]
	v_cndmask_b32_e64 v122, v129, v127, s[38:39]
	v_cndmask_b32_e32 v81, v116, v136, vcc
	v_cndmask_b32_e32 v84, v117, v137, vcc
	v_mov_b64_e32 v[128:129], v[76:77]
	v_cndmask_b32_e32 v149, v87, v127, vcc
	v_cndmask_b32_e64 v139, v79, v127, s[44:45]
	v_cndmask_b32_e64 v101, v82, v126, s[46:47]
	;; [unrolled: 1-line block ×7, first 2 shown]
	v_cndmask_b32_e32 v148, v86, v126, vcc
	v_cndmask_b32_e64 v102, v92, v126, s[44:45]
	s_waitcnt vmcnt(3)
	v_mov_b64_e32 v[50:51], v[42:43]
	scratch_load_dwordx4 v[18:21], off, off offset:2292 ; 16-byte Folded Reload
	scratch_load_dwordx4 v[22:25], off, off offset:2308 ; 16-byte Folded Reload
	;; [unrolled: 1-line block ×8, first 2 shown]
	v_cndmask_b32_e64 v7, v7, v51, s[26:27]
	v_cndmask_b32_e64 v13, v13, v50, s[26:27]
	s_waitcnt vmcnt(5)
	v_mov_b32_e32 v57, v29
	scratch_load_dwordx4 v[18:21], off, off offset:2164 ; 16-byte Folded Reload
	scratch_load_dwordx4 v[22:25], off, off offset:2180 ; 16-byte Folded Reload
	scratch_load_dwordx4 v[26:29], off, off offset:2196 ; 16-byte Folded Reload
	scratch_load_dwordx4 v[30:33], off, off offset:2212 ; 16-byte Folded Reload
	scratch_load_dwordx4 v[34:37], off, off offset:2228 ; 16-byte Folded Reload
	scratch_load_dwordx4 v[38:41], off, off offset:2244 ; 16-byte Folded Reload
	scratch_load_dwordx4 v[42:45], off, off offset:2260 ; 16-byte Folded Reload
	scratch_load_dwordx4 v[46:49], off, off offset:2276 ; 16-byte Folded Reload
	v_cndmask_b32_e64 v7, v7, v57, s[28:29]
	s_waitcnt vmcnt(4)
	v_mov_b32_e32 v55, v31
	scratch_load_dwordx4 v[18:21], off, off offset:2036 ; 16-byte Folded Reload
	scratch_load_dwordx4 v[22:25], off, off offset:2052 ; 16-byte Folded Reload
	scratch_load_dwordx4 v[26:29], off, off offset:2068 ; 16-byte Folded Reload
	scratch_load_dwordx4 v[30:33], off, off offset:2084 ; 16-byte Folded Reload
	scratch_load_dwordx4 v[34:37], off, off offset:2100 ; 16-byte Folded Reload
	scratch_load_dwordx4 v[38:41], off, off offset:2116 ; 16-byte Folded Reload
	scratch_load_dwordx4 v[42:45], off, off offset:2132 ; 16-byte Folded Reload
	scratch_load_dwordx4 v[46:49], off, off offset:2148 ; 16-byte Folded Reload
	;; [unrolled: 11-line block ×6, first 2 shown]
	v_cndmask_b32_e64 v52, v13, v54, s[34:35]
	s_waitcnt vmcnt(3)
	v_cndmask_b32_e64 v37, v7, v35, s[36:37]
	scratch_load_dwordx4 v[2:5], off, off offset:2420 ; 16-byte Folded Reload
	scratch_load_dwordx4 v[6:9], off, off offset:2436 ; 16-byte Folded Reload
	;; [unrolled: 1-line block ×8, first 2 shown]
	s_waitcnt vmcnt(6)
	v_cndmask_b32_e64 v7, v105, v115, s[4:5]
	s_waitcnt vmcnt(5)
	v_cndmask_b32_e64 v13, v104, v114, s[4:5]
	v_cndmask_b32_e64 v7, v7, v113, s[6:7]
	;; [unrolled: 1-line block ×13, first 2 shown]
	s_waitcnt vmcnt(0)
	v_cndmask_b32_e64 v33, v7, v35, s[18:19]
	v_cndmask_b32_e64 v7, v159, v165, s[4:5]
	v_cndmask_b32_e64 v7, v7, v163, s[6:7]
	v_cndmask_b32_e64 v7, v7, v129, s[8:9]
	v_cndmask_b32_e64 v7, v7, v121, s[10:11]
	v_cndmask_b32_e64 v32, v13, v18, s[18:19]
	v_cndmask_b32_e64 v36, v52, v18, s[36:37]
	v_mul_f64 v[116:117], v[32:33], v[150:151]
	v_fmac_f64_e32 v[116:117], v[36:37], v[94:95]
	v_cndmask_b32_e64 v152, v54, v116, s[42:43]
	v_cndmask_b32_e64 v135, v56, v116, s[44:45]
	;; [unrolled: 1-line block ×6, first 2 shown]
	v_cndmask_b32_e32 v142, v50, v116, vcc
	v_cndmask_b32_e32 v144, v51, v117, vcc
	scratch_load_dwordx4 v[46:49], off, off offset:116 ; 16-byte Folded Reload
	scratch_load_dwordx4 v[50:53], off, off offset:132 ; 16-byte Folded Reload
	;; [unrolled: 1-line block ×8, first 2 shown]
	v_cndmask_b32_e64 v153, v18, v116, s[40:41]
	v_cndmask_b32_e64 v167, v35, v117, s[40:41]
	;; [unrolled: 1-line block ×6, first 2 shown]
	s_movk_i32 s4, 0xff4
	v_cndmask_b32_e64 v145, v91, v117, s[38:39]
	v_cmp_eq_u32_e64 s[6:7], 2, v100
	v_cmp_eq_u32_e64 s[8:9], 3, v100
	;; [unrolled: 1-line block ×3, first 2 shown]
	v_cndmask_b32_e64 v143, v90, v116, s[38:39]
	s_waitcnt vmcnt(5)
	v_mov_b32_e32 v87, v57
	scratch_load_dwordx4 v[46:49], off, off offset:500 ; 16-byte Folded Reload
	scratch_load_dwordx4 v[50:53], off, off offset:516 ; 16-byte Folded Reload
	;; [unrolled: 1-line block ×8, first 2 shown]
	v_cndmask_b32_e64 v7, v7, v87, s[12:13]
	s_waitcnt vmcnt(4)
	v_mov_b32_e32 v79, v59
	scratch_load_dwordx4 v[46:49], off, off offset:372 ; 16-byte Folded Reload
	scratch_load_dwordx4 v[50:53], off, off offset:388 ; 16-byte Folded Reload
	;; [unrolled: 1-line block ×16, first 2 shown]
	v_cndmask_b32_e64 v7, v7, v79, s[14:15]
	s_waitcnt vmcnt(11)
	v_mov_b32_e32 v65, v61
	s_waitcnt vmcnt(5)
	v_mov_b32_e32 v68, v24
	scratch_load_dwordx4 v[14:17], off, off offset:628 ; 16-byte Folded Reload
	scratch_load_dwordx4 v[18:21], off, off offset:644 ; 16-byte Folded Reload
	;; [unrolled: 1-line block ×16, first 2 shown]
	v_cndmask_b32_e64 v13, v13, v68, s[12:13]
	v_cndmask_b32_e64 v64, v7, v65, s[16:17]
	v_cmp_eq_u32_e64 s[12:13], 5, v100
	s_waitcnt vmcnt(12)
	v_mov_b32_e32 v66, v26
	v_cndmask_b32_e64 v13, v13, v66, s[14:15]
	s_waitcnt vmcnt(1)
	v_cndmask_b32_e64 v57, v13, v46, s[16:17]
	scratch_load_dwordx4 v[0:3], off, s4    ; 16-byte Folded Reload
	scratch_load_dwordx4 v[4:7], off, s4 offset:16 ; 16-byte Folded Reload
	scratch_load_dwordx4 v[8:11], off, s4 offset:32 ; 16-byte Folded Reload
	;; [unrolled: 1-line block ×7, first 2 shown]
	s_movk_i32 s4, 0x10f4
	v_cmp_eq_u32_e64 s[14:15], 6, v100
	v_cmp_eq_u32_e64 s[16:17], 7, v100
	s_waitcnt vmcnt(3)
	v_mov_b32_e32 v47, v17
	scratch_load_dwordx4 v[0:3], off, s4    ; 16-byte Folded Reload
	scratch_load_dwordx4 v[4:7], off, s4 offset:16 ; 16-byte Folded Reload
	scratch_load_dwordx4 v[8:11], off, s4 offset:32 ; 16-byte Folded Reload
	;; [unrolled: 1-line block ×7, first 2 shown]
	s_waitcnt vmcnt(6)
	v_cndmask_b32_e64 v7, v159, v165, s[20:21]
	v_cndmask_b32_e64 v7, v7, v163, s[22:23]
	;; [unrolled: 1-line block ×7, first 2 shown]
	s_waitcnt vmcnt(5)
	v_mov_b32_e32 v8, 16
	s_waitcnt vmcnt(4)
	v_cndmask_b32_e64 v13, v158, v164, s[20:21]
	v_cndmask_b32_e64 v13, v13, v162, s[22:23]
	v_cndmask_b32_e64 v13, v13, v128, s[24:25]
	v_cndmask_b32_e64 v13, v13, v120, s[26:27]
	v_cndmask_b32_e64 v13, v13, v68, s[28:29]
	v_cndmask_b32_e64 v13, v13, v66, s[30:31]
	v_cndmask_b32_e64 v59, v64, v47, s[18:19]
	v_cndmask_b32_e64 v13, v13, v46, s[34:35]
	v_cmp_eq_u32_e64 s[4:5], 2, v97
	v_cmp_eq_u32_e64 s[20:21], 1, v96
	;; [unrolled: 1-line block ×3, first 2 shown]
	v_cndmask_b32_e64 v86, v106, v136, s[4:5]
	v_cndmask_b32_e64 v91, v107, v137, s[4:5]
	v_cndmask_b32_e64 v72, v110, v126, s[4:5]
	v_cndmask_b32_e64 v80, v111, v127, s[4:5]
	v_cmp_eq_u32_e64 s[24:25], 3, v96
	v_cmp_eq_u32_e64 s[26:27], 4, v96
	;; [unrolled: 1-line block ×5, first 2 shown]
	scratch_load_dword v5, off, off offset:3828 ; 4-byte Folded Reload
	scratch_load_dword v4, off, off offset:3700 ; 4-byte Folded Reload
	;; [unrolled: 1-line block ×4, first 2 shown]
	s_waitcnt vmcnt(7)
	v_cndmask_b32_e64 v58, v57, v16, s[18:19]
	v_cndmask_b32_e64 v57, v7, v47, s[36:37]
	v_lshlrev_b32_e32 v7, 2, v97
	v_add3_u32 v7, v8, v7, 40
	scratch_load_dword v21, v7, off
	v_mul_f64 v[82:83], v[58:59], v[150:151]
	v_cndmask_b32_e64 v56, v13, v16, s[36:37]
	v_fmac_f64_e32 v[82:83], v[56:57], v[94:95]
	v_cndmask_b32_e64 v59, v16, v82, s[40:41]
	v_cndmask_b32_e64 v58, v46, v82, s[42:43]
	;; [unrolled: 1-line block ×4, first 2 shown]
	v_cmp_eq_u32_e64 s[40:41], 1, v97
	v_cmp_eq_u32_e64 s[42:43], 0, v97
	v_cndmask_b32_e64 v61, v79, v83, s[44:45]
	v_cndmask_b32_e64 v79, v112, v116, s[4:5]
	;; [unrolled: 1-line block ×7, first 2 shown]
	v_cmp_eq_u32_e64 s[4:5], 1, v100
	v_cndmask_b32_e64 v6, v74, v78, s[20:21]
	v_cndmask_b32_e64 v6, v6, v80, s[22:23]
	v_cndmask_b32_e64 v0, v74, v78, s[4:5]
	v_cndmask_b32_e64 v0, v0, v80, s[6:7]
	v_cndmask_b32_e64 v0, v0, v122, s[8:9]
	v_cndmask_b32_e64 v6, v6, v122, s[24:25]
	v_cndmask_b32_e64 v0, v0, v149, s[10:11]
	v_cndmask_b32_e64 v6, v6, v149, s[26:27]
	v_cndmask_b32_e64 v0, v0, v138, s[12:13]
	v_cndmask_b32_e64 v6, v6, v138, s[28:29]
	v_cndmask_b32_e64 v0, v0, v139, s[14:15]
	v_cndmask_b32_e64 v6, v6, v139, s[30:31]
	v_cndmask_b32_e64 v71, v154, v126, s[40:41]
	v_cndmask_b32_e64 v69, v160, v126, s[42:43]
	v_cndmask_b32_e64 v0, v0, v140, s[16:17]
	v_cmp_eq_u32_e64 s[18:19], 8, v100
	v_cndmask_b32_e64 v6, v6, v140, s[34:35]
	v_cmp_eq_u32_e64 s[36:37], 8, v96
	v_cndmask_b32_e64 v9, v0, v141, s[18:19]
	v_cndmask_b32_e64 v0, v69, v71, s[4:5]
	;; [unrolled: 1-line block ×21, first 2 shown]
	v_cndmask_b32_e32 v67, v120, v82, vcc
	v_cndmask_b32_e32 v70, v121, v83, vcc
	v_cndmask_b32_e64 v60, v87, v83, s[46:47]
	v_cndmask_b32_e64 v65, v164, v82, s[40:41]
	;; [unrolled: 1-line block ×13, first 2 shown]
	s_waitcnt vmcnt(0)
	v_lshlrev_b32_e32 v7, 2, v21
	v_add3_u32 v7, v8, v7, 40
	v_cndmask_b32_e64 v8, v0, v118, s[18:19]
	scratch_load_dword v89, v7, off
	v_add_f64 v[0:1], -v[8:9], 0
	v_add_f64 v[6:7], v[12:13], -v[8:9]
	v_div_scale_f64 v[10:11], s[38:39], v[6:7], v[6:7], v[0:1]
	v_rcp_f64_e32 v[14:15], v[10:11]
	v_cmp_eq_u32_e64 s[38:39], 3, v21
	v_fma_f64 v[76:77], -v[10:11], v[14:15], 1.0
	v_fmac_f64_e32 v[14:15], v[14:15], v[76:77]
	v_fma_f64 v[76:77], -v[10:11], v[14:15], 1.0
	v_fmac_f64_e32 v[14:15], v[14:15], v[76:77]
	v_div_scale_f64 v[76:77], vcc, v[0:1], v[6:7], v[0:1]
	v_mul_f64 v[82:83], v[76:77], v[14:15]
	v_fma_f64 v[10:11], -v[10:11], v[82:83], v[76:77]
	s_waitcnt vmcnt(0)
	scratch_store_dword off, v89, off offset:100
	v_div_fmas_f64 v[10:11], v[10:11], v[14:15], v[82:83]
	v_div_fixup_f64 v[0:1], v[10:11], v[6:7], v[0:1]
	scratch_load_dword v7, off, off offset:3316 ; 4-byte Folded Reload
	scratch_load_dword v10, off, off offset:3188 ; 4-byte Folded Reload
	;; [unrolled: 1-line block ×3, first 2 shown]
	v_cndmask_b32_e64 v6, v93, v92, s[20:21]
	v_cndmask_b32_e64 v6, v6, v91, s[22:23]
	;; [unrolled: 1-line block ×4, first 2 shown]
	v_cmp_eq_u32_e32 vcc, 4, v21
	s_waitcnt vmcnt(2)
	v_cndmask_b32_e64 v6, v6, v7, s[28:29]
	s_waitcnt vmcnt(1)
	v_cndmask_b32_e64 v6, v6, v10, s[30:31]
	v_cndmask_b32_e64 v6, v6, v123, s[34:35]
	s_waitcnt vmcnt(0)
	v_cndmask_b32_e64 v15, v6, v11, s[36:37]
	v_cndmask_b32_e64 v6, v90, v87, s[20:21]
	v_cndmask_b32_e64 v6, v6, v86, s[22:23]
	v_cndmask_b32_e64 v6, v6, v85, s[24:25]
	v_cndmask_b32_e64 v6, v6, v81, s[26:27]
	v_cndmask_b32_e64 v6, v6, v5, s[28:29]
	v_cndmask_b32_e64 v6, v6, v4, s[30:31]
	v_cndmask_b32_e64 v6, v6, v3, s[34:35]
	v_cndmask_b32_e64 v14, v6, v2, s[36:37]
	v_cndmask_b32_e64 v6, v93, v92, s[4:5]
	v_cndmask_b32_e64 v6, v6, v91, s[6:7]
	v_cndmask_b32_e64 v6, v6, v88, s[8:9]
	v_cndmask_b32_e64 v6, v6, v84, s[10:11]
	v_cndmask_b32_e64 v6, v6, v7, s[12:13]
	v_cndmask_b32_e64 v6, v6, v10, s[14:15]
	v_cndmask_b32_e64 v6, v6, v123, s[16:17]
	v_mov_b32_e32 v18, v7
	v_cndmask_b32_e64 v7, v6, v11, s[18:19]
	v_cndmask_b32_e64 v6, v90, v87, s[4:5]
	;; [unrolled: 1-line block ×8, first 2 shown]
	v_mov_b32_e32 v19, v10
	v_mov_b32_e32 v16, v11
	v_cndmask_b32_e64 v6, v6, v2, s[18:19]
	v_add_f64 v[10:11], -v[0:1], 1.0
	v_mul_f64 v[6:7], v[6:7], v[10:11]
	v_fmac_f64_e32 v[6:7], v[14:15], v[0:1]
	v_cndmask_b32_e64 v15, v88, v7, s[38:39]
	v_cndmask_b32_e64 v14, v85, v6, s[38:39]
	scratch_store_dwordx4 off, v[8:11], off offset:756 ; 16-byte Folded Spill
	s_nop 0
	scratch_store_dwordx4 off, v[12:15], off offset:772 ; 16-byte Folded Spill
	scratch_store_dwordx4 off, v[16:19], off offset:788 ; 16-byte Folded Spill
	;; [unrolled: 1-line block ×7, first 2 shown]
	v_cndmask_b32_e64 v14, v98, v95, s[20:21]
	v_cndmask_b32_e64 v14, v14, v94, s[22:23]
	;; [unrolled: 1-line block ×32, first 2 shown]
	v_cndmask_b32_e32 v117, v84, v7, vcc
	v_cndmask_b32_e32 v116, v81, v6, vcc
	v_mul_f64 v[14:15], v[14:15], v[10:11]
	v_fmac_f64_e32 v[14:15], v[76:77], v[0:1]
	v_mul_f64 v[8:9], v[8:9], v[10:11]
	v_cndmask_b32_e64 v76, v100, v99, s[4:5]
	v_fmac_f64_e32 v[8:9], v[12:13], v[0:1]
	v_cndmask_b32_e64 v12, v100, v99, s[20:21]
	v_cndmask_b32_e64 v76, v76, v35, s[6:7]
	;; [unrolled: 1-line block ×31, first 2 shown]
	v_mul_f64 v[10:11], v[76:77], v[10:11]
	v_cmp_eq_u32_e64 s[40:41], 2, v21
	v_cmp_eq_u32_e64 s[42:43], 1, v21
	;; [unrolled: 1-line block ×3, first 2 shown]
	v_fmac_f64_e32 v[10:11], v[12:13], v[0:1]
	v_cndmask_b32_e32 v13, v144, v15, vcc
	v_cndmask_b32_e32 v12, v142, v14, vcc
	v_cndmask_b32_e64 v107, v91, v7, s[40:41]
	v_cndmask_b32_e64 v106, v86, v6, s[40:41]
	;; [unrolled: 1-line block ×6, first 2 shown]
	scratch_store_dwordx4 off, v[4:7], off offset:1396 ; 16-byte Folded Spill
	s_nop 0
	scratch_store_dwordx4 off, v[8:11], off offset:1412 ; 16-byte Folded Spill
	scratch_store_dwordx4 off, v[12:15], off offset:1428 ; 16-byte Folded Spill
	;; [unrolled: 1-line block ×7, first 2 shown]
	v_mov_b32_e32 v0, -1
	s_movk_i32 s10, 0xff4
	v_cmp_eq_u32_e64 s[8:9], 8, v21
	s_nop 1
	v_cndmask_b32_e64 v17, v16, v7, s[8:9]
	v_cndmask_b32_e64 v91, v145, v15, s[38:39]
	;; [unrolled: 1-line block ×9, first 2 shown]
	v_cndmask_b32_e32 v87, v149, v9, vcc
	v_cndmask_b32_e32 v86, v148, v8, vcc
	v_cndmask_b32_e64 v129, v122, v9, s[38:39]
	v_cndmask_b32_e64 v128, v119, v8, s[38:39]
	;; [unrolled: 1-line block ×8, first 2 shown]
	v_cndmask_b32_e32 v121, v70, v11, vcc
	v_cndmask_b32_e32 v120, v67, v10, vcc
	v_cndmask_b32_e64 v77, v68, v11, s[38:39]
	v_cndmask_b32_e64 v76, v66, v10, s[38:39]
	;; [unrolled: 1-line block ×8, first 2 shown]
	v_cmp_eq_u32_e32 vcc, 7, v21
	v_cmp_eq_u32_e64 s[4:5], 6, v21
	v_cmp_eq_u32_e64 s[6:7], 5, v21
	scratch_store_dwordx4 off, v[0:3], off offset:2932 ; 16-byte Folded Spill
	s_nop 0
	scratch_store_dwordx4 off, v[4:7], off offset:2948 ; 16-byte Folded Spill
	scratch_store_dwordx4 off, v[8:11], off offset:2964 ; 16-byte Folded Spill
	;; [unrolled: 1-line block ×7, first 2 shown]
	v_cndmask_b32_e64 v16, v2, v6, s[8:9]
	scratch_store_dwordx4 off, v[0:3], off offset:3444 ; 16-byte Folded Spill
	s_nop 0
	scratch_store_dwordx4 off, v[4:7], off offset:3460 ; 16-byte Folded Spill
	scratch_store_dwordx4 off, v[8:11], off offset:3476 ; 16-byte Folded Spill
	;; [unrolled: 1-line block ×7, first 2 shown]
	v_cndmask_b32_e32 v17, v123, v7, vcc
	scratch_store_dwordx4 off, v[2:5], off offset:3060 ; 16-byte Folded Spill
	s_nop 0
	scratch_store_dwordx4 off, v[6:9], off offset:3076 ; 16-byte Folded Spill
	scratch_store_dwordx4 off, v[10:13], off offset:3092 ; 16-byte Folded Spill
	;; [unrolled: 1-line block ×7, first 2 shown]
	v_cndmask_b32_e32 v16, v3, v6, vcc
	scratch_store_dwordx4 off, v[2:5], off offset:3572 ; 16-byte Folded Spill
	s_nop 0
	scratch_store_dwordx4 off, v[6:9], off offset:3588 ; 16-byte Folded Spill
	scratch_store_dwordx4 off, v[10:13], off offset:3604 ; 16-byte Folded Spill
	scratch_store_dwordx4 off, v[14:17], off offset:3620 ; 16-byte Folded Spill
	scratch_store_dwordx4 off, v[18:21], off offset:3636 ; 16-byte Folded Spill
	scratch_store_dwordx4 off, v[22:25], off offset:3652 ; 16-byte Folded Spill
	scratch_store_dwordx4 off, v[26:29], off offset:3668 ; 16-byte Folded Spill
	scratch_store_dwordx4 off, v[30:33], off offset:3684 ; 16-byte Folded Spill
	v_cndmask_b32_e64 v13, v19, v7, s[4:5]
	scratch_store_dwordx4 off, v[0:3], off offset:3188 ; 16-byte Folded Spill
	s_nop 0
	scratch_store_dwordx4 off, v[4:7], off offset:3204 ; 16-byte Folded Spill
	scratch_store_dwordx4 off, v[8:11], off offset:3220 ; 16-byte Folded Spill
	scratch_store_dwordx4 off, v[12:15], off offset:3236 ; 16-byte Folded Spill
	scratch_store_dwordx4 off, v[16:19], off offset:3252 ; 16-byte Folded Spill
	scratch_store_dwordx4 off, v[20:23], off offset:3268 ; 16-byte Folded Spill
	scratch_store_dwordx4 off, v[24:27], off offset:3284 ; 16-byte Folded Spill
	scratch_store_dwordx4 off, v[28:31], off offset:3300 ; 16-byte Folded Spill
	v_cndmask_b32_e64 v12, v4, v6, s[4:5]
	;; [unrolled: 10-line block ×6, first 2 shown]
	scratch_store_dwordx4 off, v[2:5], off offset:2420 ; 16-byte Folded Spill
	s_nop 0
	scratch_store_dwordx4 off, v[6:9], off offset:2436 ; 16-byte Folded Spill
	scratch_store_dwordx4 off, v[10:13], off offset:2452 ; 16-byte Folded Spill
	;; [unrolled: 1-line block ×7, first 2 shown]
	v_cndmask_b32_e32 v19, v166, v15, vcc
	scratch_store_dwordx4 off, v[4:7], off offset:2036 ; 16-byte Folded Spill
	s_nop 0
	scratch_store_dwordx4 off, v[8:11], off offset:2052 ; 16-byte Folded Spill
	scratch_store_dwordx4 off, v[12:15], off offset:2068 ; 16-byte Folded Spill
	;; [unrolled: 1-line block ×7, first 2 shown]
	v_cndmask_b32_e32 v16, v152, v14, vcc
	scratch_store_dwordx4 off, v[2:5], off offset:2548 ; 16-byte Folded Spill
	s_nop 0
	scratch_store_dwordx4 off, v[6:9], off offset:2564 ; 16-byte Folded Spill
	scratch_store_dwordx4 off, v[10:13], off offset:2580 ; 16-byte Folded Spill
	scratch_store_dwordx4 off, v[14:17], off offset:2596 ; 16-byte Folded Spill
	scratch_store_dwordx4 off, v[18:21], off offset:2612 ; 16-byte Folded Spill
	scratch_store_dwordx4 off, v[22:25], off offset:2628 ; 16-byte Folded Spill
	scratch_store_dwordx4 off, v[26:29], off offset:2644 ; 16-byte Folded Spill
	scratch_store_dwordx4 off, v[30:33], off offset:2660 ; 16-byte Folded Spill
	v_cndmask_b32_e64 v13, v157, v15, s[4:5]
	scratch_store_dwordx4 off, v[0:3], off offset:2164 ; 16-byte Folded Spill
	s_nop 0
	scratch_store_dwordx4 off, v[4:7], off offset:2180 ; 16-byte Folded Spill
	scratch_store_dwordx4 off, v[8:11], off offset:2196 ; 16-byte Folded Spill
	scratch_store_dwordx4 off, v[12:15], off offset:2212 ; 16-byte Folded Spill
	scratch_store_dwordx4 off, v[16:19], off offset:2228 ; 16-byte Folded Spill
	scratch_store_dwordx4 off, v[20:23], off offset:2244 ; 16-byte Folded Spill
	scratch_store_dwordx4 off, v[24:27], off offset:2260 ; 16-byte Folded Spill
	scratch_store_dwordx4 off, v[28:31], off offset:2276 ; 16-byte Folded Spill
	v_cndmask_b32_e64 v12, v135, v14, s[4:5]
	;; [unrolled: 10-line block ×3, first 2 shown]
	scratch_store_dwordx4 off, v[2:5], off offset:2292 ; 16-byte Folded Spill
	s_nop 0
	scratch_store_dwordx4 off, v[6:9], off offset:2308 ; 16-byte Folded Spill
	scratch_store_dwordx4 off, v[10:13], off offset:2324 ; 16-byte Folded Spill
	;; [unrolled: 1-line block ×7, first 2 shown]
	scratch_load_dword v15, off, off offset:112 ; 4-byte Folded Reload
	v_cndmask_b32_e64 v12, v134, v14, s[6:7]
	s_waitcnt vmcnt(0)
	scratch_store_dwordx4 off, v[2:5], off offset:2804 ; 16-byte Folded Spill
	s_nop 0
	scratch_store_dwordx4 off, v[6:9], off offset:2820 ; 16-byte Folded Spill
	scratch_store_dwordx4 off, v[10:13], off offset:2836 ; 16-byte Folded Spill
	;; [unrolled: 1-line block ×7, first 2 shown]
	v_cndmask_b32_e64 v35, v141, v9, s[8:9]
	v_cndmask_b32_e64 v22, v118, v8, s[8:9]
	scratch_store_dwordx4 off, v[6:9], off offset:1268 ; 16-byte Folded Spill
	s_nop 0
	scratch_store_dwordx4 off, v[10:13], off offset:1284 ; 16-byte Folded Spill
	scratch_store_dwordx4 off, v[14:17], off offset:1300 ; 16-byte Folded Spill
	;; [unrolled: 1-line block ×7, first 2 shown]
	v_cndmask_b32_e32 v23, v140, v9, vcc
	scratch_store_dwordx4 off, v[8:11], off offset:884 ; 16-byte Folded Spill
	s_nop 0
	scratch_store_dwordx4 off, v[12:15], off offset:900 ; 16-byte Folded Spill
	scratch_store_dwordx4 off, v[16:19], off offset:916 ; 16-byte Folded Spill
	;; [unrolled: 1-line block ×7, first 2 shown]
	v_cndmask_b32_e32 v14, v103, v8, vcc
	scratch_store_dwordx4 off, v[0:3], off offset:1524 ; 16-byte Folded Spill
	s_nop 0
	scratch_store_dwordx4 off, v[4:7], off offset:1540 ; 16-byte Folded Spill
	scratch_store_dwordx4 off, v[8:11], off offset:1556 ; 16-byte Folded Spill
	scratch_store_dwordx4 off, v[12:15], off offset:1572 ; 16-byte Folded Spill
	scratch_store_dwordx4 off, v[16:19], off offset:1588 ; 16-byte Folded Spill
	scratch_store_dwordx4 off, v[20:23], off offset:1604 ; 16-byte Folded Spill
	scratch_store_dwordx4 off, v[24:27], off offset:1620 ; 16-byte Folded Spill
	scratch_store_dwordx4 off, v[28:31], off offset:1636 ; 16-byte Folded Spill
	v_cndmask_b32_e64 v13, v139, v9, s[4:5]
	scratch_store_dwordx4 off, v[0:3], off offset:1012 ; 16-byte Folded Spill
	s_nop 0
	scratch_store_dwordx4 off, v[4:7], off offset:1028 ; 16-byte Folded Spill
	scratch_store_dwordx4 off, v[8:11], off offset:1044 ; 16-byte Folded Spill
	scratch_store_dwordx4 off, v[12:15], off offset:1060 ; 16-byte Folded Spill
	scratch_store_dwordx4 off, v[16:19], off offset:1076 ; 16-byte Folded Spill
	scratch_store_dwordx4 off, v[20:23], off offset:1092 ; 16-byte Folded Spill
	scratch_store_dwordx4 off, v[24:27], off offset:1108 ; 16-byte Folded Spill
	scratch_store_dwordx4 off, v[28:31], off offset:1124 ; 16-byte Folded Spill
	v_cndmask_b32_e64 v12, v102, v8, s[4:5]
	;; [unrolled: 10-line block ×5, first 2 shown]
	scratch_store_dwordx4 off, v[0:3], s10  ; 16-byte Folded Spill
	s_nop 0
	scratch_store_dwordx4 off, v[4:7], s10 offset:16 ; 16-byte Folded Spill
	scratch_store_dwordx4 off, v[8:11], s10 offset:32 ; 16-byte Folded Spill
	;; [unrolled: 1-line block ×7, first 2 shown]
	v_cndmask_b32_e64 v16, v59, v10, s[8:9]
	s_movk_i32 s8, 0x10f4
	scratch_store_dwordx4 off, v[0:3], s8   ; 16-byte Folded Spill
	s_nop 0
	scratch_store_dwordx4 off, v[4:7], s8 offset:16 ; 16-byte Folded Spill
	scratch_store_dwordx4 off, v[8:11], s8 offset:32 ; 16-byte Folded Spill
	;; [unrolled: 1-line block ×7, first 2 shown]
	v_cndmask_b32_e32 v17, v62, v11, vcc
	scratch_store_dwordx4 off, v[2:5], off offset:372 ; 16-byte Folded Spill
	s_nop 0
	scratch_store_dwordx4 off, v[6:9], off offset:388 ; 16-byte Folded Spill
	scratch_store_dwordx4 off, v[10:13], off offset:404 ; 16-byte Folded Spill
	;; [unrolled: 1-line block ×7, first 2 shown]
	v_cndmask_b32_e32 v14, v58, v10, vcc
	scratch_store_dwordx4 off, v[0:3], off offset:3956 ; 16-byte Folded Spill
	s_nop 0
	scratch_store_dwordx4 off, v[4:7], off offset:3972 ; 16-byte Folded Spill
	scratch_store_dwordx4 off, v[8:11], off offset:3988 ; 16-byte Folded Spill
	scratch_store_dwordx4 off, v[12:15], off offset:4004 ; 16-byte Folded Spill
	scratch_store_dwordx4 off, v[16:19], off offset:4020 ; 16-byte Folded Spill
	scratch_store_dwordx4 off, v[20:23], off offset:4036 ; 16-byte Folded Spill
	scratch_store_dwordx4 off, v[24:27], off offset:4052 ; 16-byte Folded Spill
	scratch_store_dwordx4 off, v[28:31], off offset:4068 ; 16-byte Folded Spill
	v_cndmask_b32_e64 v13, v61, v11, s[4:5]
	scratch_store_dwordx4 off, v[0:3], off offset:500 ; 16-byte Folded Spill
	s_nop 0
	scratch_store_dwordx4 off, v[4:7], off offset:516 ; 16-byte Folded Spill
	scratch_store_dwordx4 off, v[8:11], off offset:532 ; 16-byte Folded Spill
	scratch_store_dwordx4 off, v[12:15], off offset:548 ; 16-byte Folded Spill
	scratch_store_dwordx4 off, v[16:19], off offset:564 ; 16-byte Folded Spill
	scratch_store_dwordx4 off, v[20:23], off offset:580 ; 16-byte Folded Spill
	scratch_store_dwordx4 off, v[24:27], off offset:596 ; 16-byte Folded Spill
	scratch_store_dwordx4 off, v[28:31], off offset:612 ; 16-byte Folded Spill
	v_cndmask_b32_e64 v12, v57, v10, s[4:5]
	;; [unrolled: 10-line block ×4, first 2 shown]
	scratch_store_dwordx4 off, v[0:3], off offset:244 ; 16-byte Folded Spill
	s_nop 0
	scratch_store_dwordx4 off, v[4:7], off offset:260 ; 16-byte Folded Spill
	scratch_store_dwordx4 off, v[8:11], off offset:276 ; 16-byte Folded Spill
	;; [unrolled: 1-line block ×7, first 2 shown]
.LBB0_56:
	s_or_b64 exec, exec, s[54:55]
	scratch_store_dword off, v0, off offset:96
	s_mov_b64 s[16:17], exec
	s_movk_i32 s6, 0xff4
	scratch_load_dwordx4 v[36:39], off, s6  ; 16-byte Folded Reload
	scratch_load_dwordx4 v[40:43], off, s6 offset:16 ; 16-byte Folded Reload
	scratch_load_dwordx4 v[44:47], off, s6 offset:32 ; 16-byte Folded Reload
	;; [unrolled: 1-line block ×7, first 2 shown]
	s_and_b64 s[4:5], s[16:17], s[0:1]
	s_waitcnt vmcnt(3)
	v_mov_b32_e32 v37, v53
	s_mov_b64 exec, s[4:5]
	s_cbranch_execz .LBB0_65
; %bb.57:
	s_mov_b64 s[18:19], 0
	s_branch .LBB0_59
.LBB0_58:                               ;   in Loop: Header=BB0_59 Depth=1
	s_or_b64 exec, exec, s[6:7]
	v_cmp_gt_i32_e32 vcc, 0, v6
	s_or_b64 s[18:19], vcc, s[18:19]
	v_mov_b32_e32 v132, v6
	s_andn2_b64 exec, exec, s[18:19]
	s_cbranch_execz .LBB0_65
.LBB0_59:                               ; =>This Inner Loop Header: Depth=1
	scratch_load_dwordx4 v[36:39], off, off offset:1140 ; 16-byte Folded Reload
	scratch_load_dwordx4 v[40:43], off, off offset:1156 ; 16-byte Folded Reload
	;; [unrolled: 1-line block ×8, first 2 shown]
	v_cmp_eq_u32_e32 vcc, 1, v132
	v_cmp_eq_u32_e64 s[4:5], 2, v132
	v_cmp_eq_u32_e64 s[6:7], 3, v132
	v_cndmask_b32_e32 v6, v161, v155, vcc
	v_cndmask_b32_e64 v6, v6, v111, s[4:5]
	v_cndmask_b32_e64 v6, v6, v129, s[6:7]
	v_cmp_eq_u32_e64 s[8:9], 4, v132
	v_cmp_eq_u32_e64 s[10:11], 5, v132
	;; [unrolled: 1-line block ×3, first 2 shown]
	v_cndmask_b32_e64 v6, v6, v87, s[8:9]
	v_cmp_eq_u32_e64 s[14:15], 7, v132
	v_cndmask_b32_e32 v7, v160, v154, vcc
	v_cndmask_b32_e64 v7, v7, v110, s[4:5]
	v_cndmask_b32_e64 v7, v7, v128, s[6:7]
	;; [unrolled: 1-line block ×3, first 2 shown]
	v_cmp_eq_u32_e32 vcc, 8, v132
	s_mov_b64 s[4:5], 0
	s_waitcnt vmcnt(5)
	v_cndmask_b32_e64 v6, v6, v47, s[10:11]
	scratch_load_dwordx4 v[36:39], off, off offset:1012 ; 16-byte Folded Reload
	scratch_load_dwordx4 v[40:43], off, off offset:1028 ; 16-byte Folded Reload
	scratch_load_dwordx4 v[44:47], off, off offset:1044 ; 16-byte Folded Reload
	scratch_load_dwordx4 v[48:51], off, off offset:1060 ; 16-byte Folded Reload
	scratch_load_dwordx4 v[52:55], off, off offset:1076 ; 16-byte Folded Reload
	scratch_load_dwordx4 v[56:59], off, off offset:1092 ; 16-byte Folded Reload
	scratch_load_dwordx4 v[60:63], off, off offset:1108 ; 16-byte Folded Reload
	scratch_load_dwordx4 v[64:67], off, off offset:1124 ; 16-byte Folded Reload
	s_waitcnt vmcnt(4)
	v_cndmask_b32_e64 v6, v6, v49, s[12:13]
	scratch_load_dwordx4 v[36:39], off, off offset:884 ; 16-byte Folded Reload
	scratch_load_dwordx4 v[40:43], off, off offset:900 ; 16-byte Folded Reload
	scratch_load_dwordx4 v[44:47], off, off offset:916 ; 16-byte Folded Reload
	scratch_load_dwordx4 v[48:51], off, off offset:932 ; 16-byte Folded Reload
	scratch_load_dwordx4 v[52:55], off, off offset:948 ; 16-byte Folded Reload
	scratch_load_dwordx4 v[56:59], off, off offset:964 ; 16-byte Folded Reload
	scratch_load_dwordx4 v[60:63], off, off offset:980 ; 16-byte Folded Reload
	scratch_load_dwordx4 v[64:67], off, off offset:996 ; 16-byte Folded Reload
	;; [unrolled: 10-line block ×6, first 2 shown]
	v_cndmask_b32_e32 v7, v6, v35, vcc
	s_waitcnt vmcnt(3)
	v_cndmask_b32_e32 v6, v8, v52, vcc
	v_lshl_add_u32 v8, v132, 2, v15
	v_cmp_ngt_f64_e32 vcc, 0, v[6:7]
	scratch_load_dword v6, v8, off
                                        ; implicit-def: $vgpr7
	s_and_saveexec_b64 s[6:7], vcc
	s_xor_b64 s[6:7], exec, s[6:7]
	s_cbranch_execz .LBB0_61
; %bb.60:                               ;   in Loop: Header=BB0_59 Depth=1
	scratch_load_dword v7, off, off offset:96
                                        ; implicit-def: $vgpr8
	s_waitcnt vmcnt(0)
	v_cmp_eq_u32_e32 vcc, -1, v7
	v_mov_b32_e32 v7, 0x60
	s_and_b64 s[4:5], vcc, exec
.LBB0_61:                               ;   in Loop: Header=BB0_59 Depth=1
	s_andn2_saveexec_b64 s[6:7], s[6:7]
	s_cbranch_execz .LBB0_63
; %bb.62:                               ;   in Loop: Header=BB0_59 Depth=1
	scratch_load_dword v9, off, off offset:100
	v_mov_b32_e32 v7, 0x64
	s_or_b64 s[4:5], s[4:5], exec
	s_waitcnt vmcnt(0)
	scratch_store_dword v8, v9, off
.LBB0_63:                               ;   in Loop: Header=BB0_59 Depth=1
	s_or_b64 exec, exec, s[6:7]
	s_mov_b64 s[6:7], exec
	s_movk_i32 s8, 0xff4
	scratch_load_dwordx4 v[36:39], off, s8  ; 16-byte Folded Reload
	scratch_load_dwordx4 v[40:43], off, s8 offset:16 ; 16-byte Folded Reload
	scratch_load_dwordx4 v[44:47], off, s8 offset:32 ; 16-byte Folded Reload
	;; [unrolled: 1-line block ×7, first 2 shown]
	s_and_b64 s[4:5], s[6:7], s[4:5]
	s_waitcnt vmcnt(3)
	v_mov_b32_e32 v37, v53
	s_mov_b64 exec, s[4:5]
	s_cbranch_execz .LBB0_58
; %bb.64:                               ;   in Loop: Header=BB0_59 Depth=1
	scratch_store_dword v7, v132, off
	s_branch .LBB0_58
.LBB0_65:
	s_or_b64 exec, exec, s[16:17]
	s_and_saveexec_b64 s[4:5], s[2:3]
	s_cbranch_execz .LBB0_67
; %bb.66:
	v_cmp_gt_f64_e32 vcc, 0, v[124:125]
	v_lshlrev_b32_e32 v2, 2, v133
	v_mov_b32_e32 v3, 16
	v_cmp_gt_f64_e64 s[2:3], 0, v[130:131]
	s_and_b64 s[0:1], s[0:1], vcc
	v_add3_u32 v2, v3, v2, 40
	v_lshlrev_b32_e32 v6, 2, v97
	s_or_b64 s[0:1], s[2:3], s[0:1]
	v_lshlrev_b32_e32 v5, 2, v21
	v_add3_u32 v6, v3, v6, 40
	v_cndmask_b32_e64 v4, v96, -1, s[0:1]
	v_add3_u32 v3, v3, v5, 40
	scratch_store_dword v2, v97, off
	scratch_store_dword v6, v21, off
	;; [unrolled: 1-line block ×3, first 2 shown]
.LBB0_67:
	s_or_b64 exec, exec, s[4:5]
	scratch_load_dwordx4 v[2:5], off, off offset:56
	scratch_load_dwordx4 v[6:9], off, off offset:72
	v_mov_b64_e32 v[100:101], -1
	v_mov_b32_e32 v102, -1
	v_mov_b32_e32 v103, -1
	v_mov_b64_e32 v[142:143], 0
	s_waitcnt vmcnt(1)
	scratch_store_dwordx4 off, v[2:5], off offset:16
	s_waitcnt vmcnt(1)
	scratch_store_dwordx4 off, v[6:9], off offset:32
	scratch_load_dword v2, off, off offset:88
	scratch_load_dword v122, off, off offset:96
	v_mov_b64_e32 v[6:7], v[76:77]
	v_mov_b64_e32 v[8:9], v[100:101]
	s_waitcnt vmcnt(1)
	scratch_store_dword off, v2, off offset:48
	scratch_load_dwordx4 v[38:41], off, off offset:116 ; 16-byte Folded Reload
	scratch_load_dwordx4 v[42:45], off, off offset:132 ; 16-byte Folded Reload
	;; [unrolled: 1-line block ×8, first 2 shown]
	s_waitcnt vmcnt(9)
	v_cmp_eq_u32_e32 vcc, 1, v122
	v_cmp_eq_u32_e64 s[0:1], 2, v122
	v_cmp_eq_u32_e64 s[2:3], 3, v122
	v_cndmask_b32_e32 v2, v159, v165, vcc
	v_cndmask_b32_e64 v2, v2, v163, s[0:1]
	v_cndmask_b32_e64 v2, v2, v7, s[2:3]
	v_cndmask_b32_e32 v3, v158, v164, vcc
	v_cmp_eq_u32_e32 vcc, 4, v122
	v_cndmask_b32_e64 v3, v3, v162, s[0:1]
	v_cmp_eq_u32_e64 s[0:1], 5, v122
	v_cndmask_b32_e32 v2, v2, v121, vcc
	v_cndmask_b32_e64 v3, v3, v6, s[2:3]
	v_cndmask_b32_e32 v3, v3, v120, vcc
	v_cmp_eq_u32_e32 vcc, 6, v122
	s_waitcnt vmcnt(5)
	v_cndmask_b32_e64 v2, v2, v49, s[0:1]
	scratch_load_dwordx4 v[38:41], off, off offset:500 ; 16-byte Folded Reload
	scratch_load_dwordx4 v[42:45], off, off offset:516 ; 16-byte Folded Reload
	;; [unrolled: 1-line block ×8, first 2 shown]
	s_waitcnt vmcnt(4)
	v_cndmask_b32_e32 v2, v2, v51, vcc
	scratch_load_dwordx4 v[38:41], off, off offset:244 ; 16-byte Folded Reload
	scratch_load_dwordx4 v[42:45], off, off offset:260 ; 16-byte Folded Reload
	;; [unrolled: 1-line block ×8, first 2 shown]
	s_waitcnt vmcnt(5)
	v_cndmask_b32_e64 v3, v3, v48, s[0:1]
	scratch_load_dwordx4 v[38:41], off, off offset:372 ; 16-byte Folded Reload
	scratch_load_dwordx4 v[42:45], off, off offset:388 ; 16-byte Folded Reload
	;; [unrolled: 1-line block ×8, first 2 shown]
	v_cmp_eq_u32_e64 s[0:1], 7, v122
	s_waitcnt vmcnt(4)
	s_nop 0
	v_cndmask_b32_e64 v2, v2, v53, s[0:1]
	scratch_load_dwordx4 v[38:41], off, off offset:628 ; 16-byte Folded Reload
	scratch_load_dwordx4 v[42:45], off, off offset:644 ; 16-byte Folded Reload
	;; [unrolled: 1-line block ×8, first 2 shown]
	s_waitcnt vmcnt(4)
	v_cndmask_b32_e32 v3, v3, v50, vcc
	scratch_load_dwordx4 v[38:41], off, off offset:3956 ; 16-byte Folded Reload
	scratch_load_dwordx4 v[42:45], off, off offset:3972 ; 16-byte Folded Reload
	;; [unrolled: 1-line block ×8, first 2 shown]
	v_cmp_eq_u32_e32 vcc, 8, v122
	s_waitcnt vmcnt(4)
	v_cndmask_b32_e64 v3, v3, v52, s[0:1]
	s_movk_i32 s0, 0x10f4
	scratch_load_dwordx4 v[38:41], off, s0  ; 16-byte Folded Reload
	scratch_load_dwordx4 v[42:45], off, s0 offset:16 ; 16-byte Folded Reload
	scratch_load_dwordx4 v[46:49], off, s0 offset:32 ; 16-byte Folded Reload
	scratch_load_dwordx4 v[50:53], off, s0 offset:48 ; 16-byte Folded Reload
	scratch_load_dwordx4 v[54:57], off, s0 offset:64 ; 16-byte Folded Reload
	scratch_load_dwordx4 v[58:61], off, s0 offset:80 ; 16-byte Folded Reload
	scratch_load_dwordx4 v[62:65], off, s0 offset:96 ; 16-byte Folded Reload
	scratch_load_dwordx4 v[66:69], off, s0 offset:112 ; 16-byte Folded Reload
	scratch_load_dword v123, off, off offset:100
	v_cndmask_b32_e32 v145, v2, v37, vcc
	v_cmp_lt_i32_e64 s[0:1], -1, v122
	scratch_store_dword off, v122, off offset:104
	s_waitcnt vmcnt(5)
	v_mov_b32_e32 v16, v54
	v_cndmask_b32_e32 v144, v3, v16, vcc
	s_waitcnt vmcnt(1)
	scratch_store_dword off, v123, off offset:108
	s_and_saveexec_b64 s[10:11], s[0:1]
	s_cbranch_execz .LBB0_71
; %bb.68:
	scratch_load_dwordx4 v[38:41], off, off offset:372 ; 16-byte Folded Reload
	scratch_load_dwordx4 v[42:45], off, off offset:388 ; 16-byte Folded Reload
	scratch_load_dwordx4 v[46:49], off, off offset:404 ; 16-byte Folded Reload
	scratch_load_dwordx4 v[50:53], off, off offset:420 ; 16-byte Folded Reload
	scratch_load_dwordx4 v[54:57], off, off offset:436 ; 16-byte Folded Reload
	scratch_load_dwordx4 v[58:61], off, off offset:452 ; 16-byte Folded Reload
	scratch_load_dwordx4 v[62:65], off, off offset:468 ; 16-byte Folded Reload
	scratch_load_dwordx4 v[66:69], off, off offset:484 ; 16-byte Folded Reload
	s_movk_i32 s2, 0x10f4
	s_mov_b64 s[12:13], 0
	v_mov_b32_e32 v102, -1
	v_mov_b32_e32 v7, v122
	v_mov_b32_e32 v100, -1
	v_mov_b32_e32 v8, -1
	;; [unrolled: 1-line block ×3, first 2 shown]
	v_mov_b64_e32 v[10:11], v[144:145]
	v_mov_b64_e32 v[18:19], v[76:77]
	s_waitcnt vmcnt(4)
	v_mov_b32_e32 v17, v53
	scratch_load_dwordx4 v[38:41], off, off offset:500 ; 16-byte Folded Reload
	scratch_load_dwordx4 v[42:45], off, off offset:516 ; 16-byte Folded Reload
	;; [unrolled: 1-line block ×8, first 2 shown]
	s_waitcnt vmcnt(4)
	v_mov_b32_e32 v21, v51
	scratch_load_dwordx4 v[38:41], off, off offset:116 ; 16-byte Folded Reload
	scratch_load_dwordx4 v[42:45], off, off offset:132 ; 16-byte Folded Reload
	;; [unrolled: 1-line block ×8, first 2 shown]
	s_waitcnt vmcnt(5)
	v_mov_b32_e32 v23, v49
	scratch_load_dwordx4 v[38:41], off, s2  ; 16-byte Folded Reload
	scratch_load_dwordx4 v[42:45], off, s2 offset:16 ; 16-byte Folded Reload
	scratch_load_dwordx4 v[46:49], off, s2 offset:32 ; 16-byte Folded Reload
	;; [unrolled: 1-line block ×7, first 2 shown]
	s_waitcnt vmcnt(3)
	v_mov_b32_e32 v16, v54
	scratch_load_dwordx4 v[38:41], off, off offset:3956 ; 16-byte Folded Reload
	scratch_load_dwordx4 v[42:45], off, off offset:3972 ; 16-byte Folded Reload
	scratch_load_dwordx4 v[46:49], off, off offset:3988 ; 16-byte Folded Reload
	scratch_load_dwordx4 v[50:53], off, off offset:4004 ; 16-byte Folded Reload
	scratch_load_dwordx4 v[54:57], off, off offset:4020 ; 16-byte Folded Reload
	scratch_load_dwordx4 v[58:61], off, off offset:4036 ; 16-byte Folded Reload
	scratch_load_dwordx4 v[62:65], off, off offset:4052 ; 16-byte Folded Reload
	scratch_load_dwordx4 v[66:69], off, off offset:4068 ; 16-byte Folded Reload
	s_waitcnt vmcnt(4)
	v_mov_b32_e32 v20, v52
	scratch_load_dwordx4 v[38:41], off, off offset:628 ; 16-byte Folded Reload
	scratch_load_dwordx4 v[42:45], off, off offset:644 ; 16-byte Folded Reload
	scratch_load_dwordx4 v[46:49], off, off offset:660 ; 16-byte Folded Reload
	scratch_load_dwordx4 v[50:53], off, off offset:676 ; 16-byte Folded Reload
	scratch_load_dwordx4 v[54:57], off, off offset:692 ; 16-byte Folded Reload
	scratch_load_dwordx4 v[58:61], off, off offset:708 ; 16-byte Folded Reload
	scratch_load_dwordx4 v[62:65], off, off offset:724 ; 16-byte Folded Reload
	scratch_load_dwordx4 v[66:69], off, off offset:740 ; 16-byte Folded Reload
	s_waitcnt vmcnt(4)
	v_mov_b32_e32 v12, v50
	scratch_load_dwordx4 v[38:41], off, off offset:244 ; 16-byte Folded Reload
	scratch_load_dwordx4 v[42:45], off, off offset:260 ; 16-byte Folded Reload
	scratch_load_dwordx4 v[46:49], off, off offset:276 ; 16-byte Folded Reload
	scratch_load_dwordx4 v[50:53], off, off offset:292 ; 16-byte Folded Reload
	scratch_load_dwordx4 v[54:57], off, off offset:308 ; 16-byte Folded Reload
	scratch_load_dwordx4 v[58:61], off, off offset:324 ; 16-byte Folded Reload
	scratch_load_dwordx4 v[62:65], off, off offset:340 ; 16-byte Folded Reload
	scratch_load_dwordx4 v[66:69], off, off offset:356 ; 16-byte Folded Reload
	s_waitcnt vmcnt(5)
	v_mov_b32_e32 v22, v48
.LBB0_69:                               ; =>This Inner Loop Header: Depth=1
	s_waitcnt vmcnt(0)
	v_lshl_add_u32 v2, v7, 2, v15
	scratch_load_dword v9, v2, off
	v_mov_b64_e32 v[142:143], v[10:11]
	s_waitcnt vmcnt(0)
	v_cmp_gt_i32_e32 vcc, 0, v9
	s_nop 1
	v_cndmask_b32_e32 v13, v9, v122, vcc
	v_cmp_eq_u32_e64 s[2:3], 1, v13
	v_cmp_eq_u32_e64 s[4:5], 2, v13
	;; [unrolled: 1-line block ×3, first 2 shown]
	v_cndmask_b32_e64 v2, v159, v165, s[2:3]
	v_cndmask_b32_e64 v3, v158, v164, s[2:3]
	;; [unrolled: 1-line block ×5, first 2 shown]
	v_cmp_eq_u32_e64 s[2:3], 4, v13
	v_cndmask_b32_e64 v3, v3, v18, s[6:7]
	v_cmp_eq_u32_e64 s[4:5], 5, v13
	v_cndmask_b32_e64 v2, v2, v121, s[2:3]
	v_cndmask_b32_e64 v3, v3, v120, s[2:3]
	;; [unrolled: 1-line block ×3, first 2 shown]
	v_cmp_eq_u32_e64 s[2:3], 6, v13
	v_cndmask_b32_e64 v3, v3, v22, s[4:5]
	v_cmp_eq_u32_e64 s[4:5], 7, v13
	v_cndmask_b32_e64 v2, v2, v21, s[2:3]
	v_cndmask_b32_e64 v3, v3, v12, s[2:3]
	;; [unrolled: 1-line block ×4, first 2 shown]
	v_cmp_eq_u32_e64 s[2:3], 8, v13
	v_cmp_gt_f64_e64 s[4:5], 0, v[142:143]
	s_nop 0
	v_cndmask_b32_e64 v15, v2, v37, s[2:3]
	v_cndmask_b32_e64 v14, v3, v16, s[2:3]
	v_cmp_gt_f64_e64 s[6:7], 0, v[14:15]
	v_cmp_le_f64_e64 s[8:9], 0, v[14:15]
	v_mov_b64_e32 v[10:11], v[14:15]
	scratch_load_dword v15, off, off offset:112 ; 4-byte Folded Reload
	v_cmp_le_f64_e64 s[2:3], 0, v[142:143]
	s_and_b64 s[2:3], s[2:3], s[6:7]
	s_and_b64 s[4:5], s[4:5], s[8:9]
	v_cndmask_b32_e64 v8, v8, v13, s[2:3]
	v_cndmask_b32_e64 v103, v103, v13, s[4:5]
	;; [unrolled: 1-line block ×4, first 2 shown]
	s_or_b64 s[12:13], vcc, s[12:13]
	v_mov_b32_e32 v7, v9
	s_andn2_b64 exec, exec, s[12:13]
	s_cbranch_execnz .LBB0_69
; %bb.70:
	s_or_b64 exec, exec, s[12:13]
.LBB0_71:
	s_or_b64 exec, exec, s[10:11]
	v_mov_b32_e32 v79, v35
	v_cmp_lt_i32_e64 s[2:3], -1, v102
	v_mov_b32_e32 v101, -1
	v_mov_b32_e32 v9, -1
	;; [unrolled: 1-line block ×3, first 2 shown]
	s_and_saveexec_b64 s[54:55], s[2:3]
	s_cbranch_execz .LBB0_73
; %bb.72:
	scratch_load_dwordx4 v[38:41], off, off offset:116 ; 16-byte Folded Reload
	scratch_load_dwordx4 v[42:45], off, off offset:132 ; 16-byte Folded Reload
	;; [unrolled: 1-line block ×8, first 2 shown]
	v_cmp_eq_u32_e64 s[4:5], 1, v8
	v_cmp_eq_u32_e64 s[6:7], 2, v8
	;; [unrolled: 1-line block ×3, first 2 shown]
	v_cndmask_b32_e64 v7, v159, v165, s[4:5]
	v_cndmask_b32_e64 v7, v7, v163, s[6:7]
	;; [unrolled: 1-line block ×3, first 2 shown]
	v_cmp_eq_u32_e64 s[10:11], 4, v8
	v_cmp_eq_u32_e64 s[12:13], 5, v8
	;; [unrolled: 1-line block ×3, first 2 shown]
	v_cndmask_b32_e64 v7, v7, v121, s[10:11]
	v_cmp_eq_u32_e64 s[16:17], 7, v8
	v_cmp_eq_u32_e64 s[18:19], 8, v8
	v_cndmask_b32_e64 v8, v158, v164, s[4:5]
	v_cndmask_b32_e64 v8, v8, v162, s[6:7]
	;; [unrolled: 1-line block ×4, first 2 shown]
	v_cmp_eq_u32_e64 s[20:21], 1, v102
	v_cmp_eq_u32_e64 s[22:23], 2, v102
	;; [unrolled: 1-line block ×5, first 2 shown]
	v_cndmask_b32_e64 v10, v158, v164, s[20:21]
	v_cndmask_b32_e64 v10, v10, v162, s[22:23]
	;; [unrolled: 1-line block ×4, first 2 shown]
	v_cmp_eq_u32_e64 s[30:31], 6, v102
	v_cmp_eq_u32_e64 s[36:37], 7, v102
	;; [unrolled: 1-line block ×3, first 2 shown]
	v_mov_b32_e32 v97, v37
	v_mov_b32_e32 v78, v16
	v_cndmask_b32_e64 v13, v146, v108, s[20:21]
	v_cndmask_b32_e64 v13, v13, v106, s[22:23]
	v_cmp_eq_u32_e64 s[40:41], 8, v123
	v_cmp_eq_u32_e64 s[42:43], 7, v123
	;; [unrolled: 1-line block ×4, first 2 shown]
	s_waitcnt vmcnt(5)
	v_cndmask_b32_e64 v7, v7, v49, s[12:13]
	scratch_load_dwordx4 v[38:41], off, off offset:500 ; 16-byte Folded Reload
	scratch_load_dwordx4 v[42:45], off, off offset:516 ; 16-byte Folded Reload
	;; [unrolled: 1-line block ×8, first 2 shown]
	s_waitcnt vmcnt(4)
	v_mov_b32_e32 v149, v51
	scratch_load_dwordx4 v[38:41], off, off offset:372 ; 16-byte Folded Reload
	scratch_load_dwordx4 v[42:45], off, off offset:388 ; 16-byte Folded Reload
	;; [unrolled: 1-line block ×8, first 2 shown]
	v_cndmask_b32_e64 v7, v7, v149, s[14:15]
	s_waitcnt vmcnt(4)
	v_mov_b32_e32 v99, v53
	scratch_load_dwordx4 v[38:41], off, off offset:244 ; 16-byte Folded Reload
	scratch_load_dwordx4 v[42:45], off, off offset:260 ; 16-byte Folded Reload
	;; [unrolled: 1-line block ×8, first 2 shown]
	v_cndmask_b32_e64 v7, v7, v99, s[16:17]
	v_cndmask_b32_e64 v95, v7, v37, s[18:19]
	;; [unrolled: 1-line block ×6, first 2 shown]
	s_waitcnt vmcnt(5)
	v_cndmask_b32_e64 v8, v8, v48, s[12:13]
	scratch_load_dwordx4 v[38:41], off, off offset:628 ; 16-byte Folded Reload
	scratch_load_dwordx4 v[42:45], off, off offset:644 ; 16-byte Folded Reload
	;; [unrolled: 1-line block ×8, first 2 shown]
	s_waitcnt vmcnt(4)
	v_mov_b32_e32 v98, v50
	scratch_load_dwordx4 v[38:41], off, off offset:3956 ; 16-byte Folded Reload
	scratch_load_dwordx4 v[42:45], off, off offset:3972 ; 16-byte Folded Reload
	;; [unrolled: 1-line block ×8, first 2 shown]
	v_cndmask_b32_e64 v8, v8, v98, s[14:15]
	s_waitcnt vmcnt(4)
	v_mov_b32_e32 v96, v52
	scratch_load_dwordx4 v[38:41], off, off offset:116 ; 16-byte Folded Reload
	scratch_load_dwordx4 v[42:45], off, off offset:132 ; 16-byte Folded Reload
	;; [unrolled: 1-line block ×8, first 2 shown]
	v_cndmask_b32_e64 v8, v8, v96, s[16:17]
	v_cndmask_b32_e64 v94, v8, v78, s[18:19]
	v_add_f64 v[14:15], -v[94:95], 0
	s_waitcnt vmcnt(5)
	v_cndmask_b32_e64 v7, v7, v49, s[28:29]
	scratch_load_dwordx4 v[38:41], off, off offset:244 ; 16-byte Folded Reload
	scratch_load_dwordx4 v[42:45], off, off offset:260 ; 16-byte Folded Reload
	;; [unrolled: 1-line block ×8, first 2 shown]
	v_cndmask_b32_e64 v7, v7, v149, s[30:31]
	v_cndmask_b32_e64 v7, v7, v99, s[36:37]
	;; [unrolled: 1-line block ×5, first 2 shown]
	s_waitcnt vmcnt(5)
	v_cndmask_b32_e64 v10, v10, v48, s[28:29]
	scratch_load_dwordx4 v[44:47], off, off offset:756 ; 16-byte Folded Reload
	scratch_load_dwordx4 v[48:51], off, off offset:772 ; 16-byte Folded Reload
	;; [unrolled: 1-line block ×8, first 2 shown]
	v_cndmask_b32_e64 v10, v10, v98, s[30:31]
	v_cndmask_b32_e64 v10, v10, v96, s[36:37]
	;; [unrolled: 1-line block ×3, first 2 shown]
	v_add_f64 v[16:17], v[82:83], -v[94:95]
	v_div_scale_f64 v[22:23], s[34:35], v[16:17], v[16:17], v[14:15]
	v_rcp_f64_e32 v[24:25], v[22:23]
	v_cmp_eq_u32_e64 s[34:35], 3, v123
	v_fma_f64 v[26:27], -v[22:23], v[24:25], 1.0
	v_fmac_f64_e32 v[24:25], v[24:25], v[26:27]
	v_fma_f64 v[26:27], -v[22:23], v[24:25], 1.0
	v_fmac_f64_e32 v[24:25], v[24:25], v[26:27]
	v_div_scale_f64 v[26:27], vcc, v[14:15], v[16:17], v[14:15]
	v_mul_f64 v[28:29], v[26:27], v[24:25]
	v_fma_f64 v[22:23], -v[22:23], v[28:29], v[26:27]
	s_waitcnt vmcnt(6)
	v_mov_b64_e32 v[30:31], v[50:51]
	scratch_load_dwordx4 v[32:35], off, off offset:3316 ; 16-byte Folded Reload
	scratch_load_dwordx4 v[36:39], off, off offset:3332 ; 16-byte Folded Reload
	;; [unrolled: 1-line block ×8, first 2 shown]
	v_div_fmas_f64 v[22:23], v[22:23], v[24:25], v[28:29]
	v_div_fixup_f64 v[92:93], v[22:23], v[16:17], v[14:15]
	v_cndmask_b32_e64 v7, v7, v31, s[24:25]
	v_cndmask_b32_e64 v13, v13, v30, s[24:25]
	;; [unrolled: 1-line block ×4, first 2 shown]
	s_waitcnt vmcnt(9)
	v_add_f64 v[70:71], -v[92:93], 1.0
	v_cmp_eq_u32_e32 vcc, 4, v123
	s_waitcnt vmcnt(5)
	v_mov_b32_e32 v11, v43
	scratch_load_dwordx4 v[32:35], off, off offset:3188 ; 16-byte Folded Reload
	scratch_load_dwordx4 v[36:39], off, off offset:3204 ; 16-byte Folded Reload
	scratch_load_dwordx4 v[40:43], off, off offset:3220 ; 16-byte Folded Reload
	scratch_load_dwordx4 v[44:47], off, off offset:3236 ; 16-byte Folded Reload
	scratch_load_dwordx4 v[48:51], off, off offset:3252 ; 16-byte Folded Reload
	scratch_load_dwordx4 v[52:55], off, off offset:3268 ; 16-byte Folded Reload
	scratch_load_dwordx4 v[56:59], off, off offset:3284 ; 16-byte Folded Reload
	scratch_load_dwordx4 v[60:63], off, off offset:3300 ; 16-byte Folded Reload
	v_cndmask_b32_e64 v7, v7, v11, s[28:29]
	s_waitcnt vmcnt(4)
	v_mov_b32_e32 v21, v45
	scratch_load_dwordx4 v[32:35], off, off offset:3060 ; 16-byte Folded Reload
	scratch_load_dwordx4 v[36:39], off, off offset:3076 ; 16-byte Folded Reload
	scratch_load_dwordx4 v[40:43], off, off offset:3092 ; 16-byte Folded Reload
	scratch_load_dwordx4 v[44:47], off, off offset:3108 ; 16-byte Folded Reload
	scratch_load_dwordx4 v[48:51], off, off offset:3124 ; 16-byte Folded Reload
	scratch_load_dwordx4 v[52:55], off, off offset:3140 ; 16-byte Folded Reload
	scratch_load_dwordx4 v[56:59], off, off offset:3156 ; 16-byte Folded Reload
	scratch_load_dwordx4 v[60:63], off, off offset:3172 ; 16-byte Folded Reload
	v_cndmask_b32_e64 v7, v7, v21, s[30:31]
	;; [unrolled: 11-line block ×7, first 2 shown]
	v_cndmask_b32_e64 v7, v147, v109, s[4:5]
	v_cndmask_b32_e64 v7, v7, v107, s[6:7]
	;; [unrolled: 1-line block ×11, first 2 shown]
	s_waitcnt vmcnt(3)
	v_mov_b32_e32 v18, v48
	v_cndmask_b32_e64 v22, v13, v18, s[38:39]
	v_cndmask_b32_e64 v13, v146, v108, s[4:5]
	;; [unrolled: 1-line block ×9, first 2 shown]
	v_mul_f64 v[68:69], v[16:17], v[70:71]
	v_fmac_f64_e32 v[68:69], v[22:23], v[92:93]
	v_cndmask_b32_e64 v118, v18, v68, s[40:41]
	v_cndmask_b32_e64 v119, v14, v68, s[42:43]
	v_cndmask_b32_e64 v124, v12, v68, s[44:45]
	v_cndmask_b32_e64 v125, v10, v68, s[46:47]
	v_cndmask_b32_e64 v131, v19, v69, s[40:41]
	v_cndmask_b32_e64 v130, v15, v69, s[42:43]
	v_cndmask_b32_e64 v127, v21, v69, s[44:45]
	v_cndmask_b32_e64 v126, v11, v69, s[46:47]
	v_cndmask_b32_e64 v88, v30, v68, s[34:35]
	v_cndmask_b32_e64 v89, v31, v69, s[34:35]
	scratch_load_dwordx4 v[8:11], off, off offset:1396 ; 16-byte Folded Reload
	scratch_load_dwordx4 v[12:15], off, off offset:1412 ; 16-byte Folded Reload
	;; [unrolled: 1-line block ×8, first 2 shown]
	v_cndmask_b32_e32 v84, v116, v68, vcc
	v_cndmask_b32_e32 v85, v117, v69, vcc
	s_waitcnt vmcnt(5)
	v_mov_b64_e32 v[74:75], v[16:17]
	scratch_load_dwordx4 v[10:13], off, off offset:2292 ; 16-byte Folded Reload
	scratch_load_dwordx4 v[14:17], off, off offset:2308 ; 16-byte Folded Reload
	scratch_load_dwordx4 v[18:21], off, off offset:2324 ; 16-byte Folded Reload
	scratch_load_dwordx4 v[22:25], off, off offset:2340 ; 16-byte Folded Reload
	scratch_load_dwordx4 v[26:29], off, off offset:2356 ; 16-byte Folded Reload
	scratch_load_dwordx4 v[30:33], off, off offset:2372 ; 16-byte Folded Reload
	scratch_load_dwordx4 v[34:37], off, off offset:2388 ; 16-byte Folded Reload
	scratch_load_dwordx4 v[38:41], off, off offset:2404 ; 16-byte Folded Reload
	v_cndmask_b32_e64 v7, v7, v75, s[26:27]
	s_waitcnt vmcnt(5)
	v_mov_b32_e32 v73, v21
	scratch_load_dwordx4 v[10:13], off, off offset:2164 ; 16-byte Folded Reload
	scratch_load_dwordx4 v[14:17], off, off offset:2180 ; 16-byte Folded Reload
	;; [unrolled: 1-line block ×16, first 2 shown]
	s_waitcnt vmcnt(15)
	v_cndmask_b32_e64 v13, v104, v114, s[20:21]
	v_cndmask_b32_e64 v13, v13, v112, s[22:23]
	;; [unrolled: 1-line block ×5, first 2 shown]
	s_waitcnt vmcnt(12)
	v_mov_b32_e32 v65, v23
	scratch_load_dwordx4 v[14:17], off, off offset:2804 ; 16-byte Folded Reload
	scratch_load_dwordx4 v[18:21], off, off offset:2820 ; 16-byte Folded Reload
	scratch_load_dwordx4 v[22:25], off, off offset:2836 ; 16-byte Folded Reload
	scratch_load_dwordx4 v[26:29], off, off offset:2852 ; 16-byte Folded Reload
	scratch_load_dwordx4 v[30:33], off, off offset:2868 ; 16-byte Folded Reload
	scratch_load_dwordx4 v[34:37], off, off offset:2884 ; 16-byte Folded Reload
	scratch_load_dwordx4 v[38:41], off, off offset:2900 ; 16-byte Folded Reload
	scratch_load_dwordx4 v[42:45], off, off offset:2916 ; 16-byte Folded Reload
	v_cndmask_b32_e64 v7, v7, v65, s[30:31]
	s_waitcnt vmcnt(12)
	v_cndmask_b32_e64 v7, v7, v47, s[36:37]
	s_waitcnt vmcnt(5)
	v_mov_b32_e32 v52, v24
	scratch_load_dwordx4 v[14:17], off, off offset:2676 ; 16-byte Folded Reload
	scratch_load_dwordx4 v[18:21], off, off offset:2692 ; 16-byte Folded Reload
	scratch_load_dwordx4 v[22:25], off, off offset:2708 ; 16-byte Folded Reload
	scratch_load_dwordx4 v[26:29], off, off offset:2724 ; 16-byte Folded Reload
	scratch_load_dwordx4 v[30:33], off, off offset:2740 ; 16-byte Folded Reload
	scratch_load_dwordx4 v[34:37], off, off offset:2756 ; 16-byte Folded Reload
	scratch_load_dwordx4 v[38:41], off, off offset:2772 ; 16-byte Folded Reload
	scratch_load_dwordx4 v[42:45], off, off offset:2788 ; 16-byte Folded Reload
	v_cndmask_b32_e64 v13, v13, v52, s[28:29]
	s_waitcnt vmcnt(4)
	v_mov_b32_e32 v50, v26
	scratch_load_dwordx4 v[14:17], off, off offset:2548 ; 16-byte Folded Reload
	scratch_load_dwordx4 v[18:21], off, off offset:2564 ; 16-byte Folded Reload
	scratch_load_dwordx4 v[22:25], off, off offset:2580 ; 16-byte Folded Reload
	scratch_load_dwordx4 v[26:29], off, off offset:2596 ; 16-byte Folded Reload
	scratch_load_dwordx4 v[30:33], off, off offset:2612 ; 16-byte Folded Reload
	scratch_load_dwordx4 v[34:37], off, off offset:2628 ; 16-byte Folded Reload
	scratch_load_dwordx4 v[38:41], off, off offset:2644 ; 16-byte Folded Reload
	scratch_load_dwordx4 v[42:45], off, off offset:2660 ; 16-byte Folded Reload
	;; [unrolled: 11-line block ×3, first 2 shown]
	v_cndmask_b32_e64 v46, v13, v48, s[36:37]
	s_waitcnt vmcnt(2)
	v_mov_b32_e32 v35, v31
	v_cndmask_b32_e64 v37, v7, v35, s[38:39]
	scratch_load_dwordx4 v[0:3], off, off offset:2420 ; 16-byte Folded Reload
	scratch_load_dwordx4 v[4:7], off, off offset:2436 ; 16-byte Folded Reload
	;; [unrolled: 1-line block ×8, first 2 shown]
	s_waitcnt vmcnt(6)
	v_cndmask_b32_e64 v7, v105, v115, s[4:5]
	s_waitcnt vmcnt(4)
	v_cndmask_b32_e64 v13, v104, v114, s[4:5]
	v_cndmask_b32_e64 v7, v7, v113, s[6:7]
	v_cndmask_b32_e64 v13, v13, v112, s[6:7]
	v_cndmask_b32_e64 v7, v7, v91, s[8:9]
	v_cndmask_b32_e64 v13, v13, v90, s[8:9]
	v_cndmask_b32_e64 v7, v7, v75, s[10:11]
	v_cndmask_b32_e64 v13, v13, v74, s[10:11]
	v_cndmask_b32_e64 v7, v7, v73, s[12:13]
	v_cndmask_b32_e64 v13, v13, v52, s[12:13]
	v_cndmask_b32_e64 v7, v7, v65, s[14:15]
	v_cndmask_b32_e64 v13, v13, v50, s[14:15]
	v_cndmask_b32_e64 v7, v7, v47, s[16:17]
	v_cndmask_b32_e64 v13, v13, v48, s[16:17]
	v_cndmask_b32_e64 v33, v7, v35, s[18:19]
	v_cndmask_b32_e64 v7, v161, v155, s[20:21]
	v_cndmask_b32_e64 v7, v7, v111, s[22:23]
	v_cndmask_b32_e64 v7, v7, v129, s[24:25]
	v_cndmask_b32_e64 v7, v7, v87, s[26:27]
	s_waitcnt vmcnt(3)
	v_cndmask_b32_e64 v32, v13, v16, s[18:19]
	v_cndmask_b32_e64 v36, v46, v16, s[38:39]
	v_mul_f64 v[66:67], v[32:33], v[70:71]
	v_fmac_f64_e32 v[66:67], v[36:37], v[92:93]
	v_cndmask_b32_e64 v135, v16, v66, s[40:41]
	v_cndmask_b32_e64 v139, v35, v67, s[40:41]
	scratch_load_dwordx4 v[8:11], off, off offset:1140 ; 16-byte Folded Reload
	scratch_load_dwordx4 v[12:15], off, off offset:1156 ; 16-byte Folded Reload
	;; [unrolled: 1-line block ×8, first 2 shown]
	v_cndmask_b32_e64 v134, v48, v66, s[42:43]
	v_cndmask_b32_e64 v133, v50, v66, s[44:45]
	;; [unrolled: 1-line block ×4, first 2 shown]
	scratch_load_dwordx4 v[30:33], off, off offset:1012 ; 16-byte Folded Reload
	scratch_load_dwordx4 v[34:37], off, off offset:1028 ; 16-byte Folded Reload
	;; [unrolled: 1-line block ×8, first 2 shown]
	v_cndmask_b32_e64 v137, v65, v67, s[44:45]
	v_cndmask_b32_e64 v136, v73, v67, s[46:47]
	v_cndmask_b32_e32 v62, v74, v66, vcc
	v_cndmask_b32_e64 v140, v90, v66, s[34:35]
	v_cndmask_b32_e64 v141, v91, v67, s[34:35]
	v_cndmask_b32_e32 v63, v75, v67, vcc
	s_waitcnt vmcnt(13)
	v_mov_b32_e32 v65, v19
	v_cndmask_b32_e64 v7, v7, v65, s[28:29]
	s_waitcnt vmcnt(1)
	v_mov_b32_e32 v55, v43
	v_cndmask_b32_e64 v42, v7, v55, s[30:31]
	scratch_load_dwordx4 v[6:9], off, off offset:884 ; 16-byte Folded Reload
	scratch_load_dwordx4 v[10:13], off, off offset:900 ; 16-byte Folded Reload
	;; [unrolled: 1-line block ×8, first 2 shown]
	s_waitcnt vmcnt(6)
	v_cndmask_b32_e64 v13, v160, v154, s[20:21]
	v_cndmask_b32_e64 v13, v13, v110, s[22:23]
	v_cndmask_b32_e64 v13, v13, v128, s[24:25]
	v_cndmask_b32_e64 v13, v13, v86, s[26:27]
	v_cmp_eq_u32_e64 s[20:21], 1, v123
	v_cmp_eq_u32_e64 s[22:23], 0, v123
	;; [unrolled: 1-line block ×3, first 2 shown]
	s_waitcnt vmcnt(4)
	v_mov_b32_e32 v57, v21
	v_cndmask_b32_e64 v7, v42, v57, s[36:37]
	scratch_load_dwordx4 v[14:17], off, off offset:1780 ; 16-byte Folded Reload
	scratch_load_dwordx4 v[18:21], off, off offset:1796 ; 16-byte Folded Reload
	;; [unrolled: 1-line block ×8, first 2 shown]
	v_cndmask_b32_e64 v90, v146, v68, s[22:23]
	v_cndmask_b32_e64 v75, v104, v66, s[22:23]
	s_waitcnt vmcnt(5)
	v_mov_b32_e32 v54, v24
	scratch_load_dwordx4 v[14:17], off, off offset:1652 ; 16-byte Folded Reload
	scratch_load_dwordx4 v[18:21], off, off offset:1668 ; 16-byte Folded Reload
	;; [unrolled: 1-line block ×8, first 2 shown]
	v_cndmask_b32_e64 v13, v13, v54, s[28:29]
	s_waitcnt vmcnt(4)
	v_mov_b32_e32 v52, v26
	scratch_load_dwordx4 v[20:23], off, off offset:1524 ; 16-byte Folded Reload
	scratch_load_dwordx4 v[24:27], off, off offset:1540 ; 16-byte Folded Reload
	;; [unrolled: 1-line block ×8, first 2 shown]
	v_cndmask_b32_e64 v13, v13, v52, s[30:31]
	s_waitcnt vmcnt(4)
	v_mov_b32_e32 v35, v79
	s_waitcnt vmcnt(1)
	v_cndmask_b32_e64 v45, v7, v35, s[38:39]
	v_cmp_eq_u32_e64 s[30:31], 2, v103
	v_cndmask_b32_e64 v32, v13, v34, s[36:37]
	scratch_load_dwordx4 v[0:3], off, off offset:1268 ; 16-byte Folded Reload
	scratch_load_dwordx4 v[4:7], off, off offset:1284 ; 16-byte Folded Reload
	;; [unrolled: 1-line block ×8, first 2 shown]
	s_waitcnt vmcnt(6)
	v_cndmask_b32_e64 v7, v161, v155, s[4:5]
	s_waitcnt vmcnt(4)
	v_cndmask_b32_e64 v13, v160, v154, s[4:5]
	v_cndmask_b32_e64 v7, v7, v111, s[6:7]
	;; [unrolled: 1-line block ×14, first 2 shown]
	v_mul_f64 v[8:9], v[94:95], v[70:71]
	v_fmac_f64_e32 v[8:9], v[82:83], v[92:93]
	v_lshlrev_b32_e32 v7, 2, v123
	v_cmp_eq_u32_e64 s[4:5], 2, v123
	v_cndmask_b32_e64 v56, v96, v8, s[42:43]
	v_cndmask_b32_e64 v95, v115, v67, s[20:21]
	;; [unrolled: 1-line block ×5, first 2 shown]
	v_cmp_eq_u32_e64 s[6:7], 2, v100
	v_cmp_eq_u32_e64 s[8:9], 3, v100
	;; [unrolled: 1-line block ×5, first 2 shown]
	v_cndmask_b32_e64 v61, v97, v9, s[40:41]
	v_cndmask_b32_e64 v59, v149, v9, s[44:45]
	v_cmp_eq_u32_e64 s[14:15], 6, v100
	v_cndmask_b32_e64 v60, v99, v9, s[42:43]
	v_cmp_eq_u32_e64 s[16:17], 7, v100
	s_waitcnt vmcnt(3)
	v_cndmask_b32_e64 v46, v13, v16, s[18:19]
	v_cndmask_b32_e64 v44, v32, v16, s[38:39]
	v_mul_f64 v[80:81], v[46:47], v[70:71]
	v_fmac_f64_e32 v[80:81], v[44:45], v[92:93]
	v_cndmask_b32_e64 v47, v16, v80, s[40:41]
	v_cndmask_b32_e64 v46, v34, v80, s[42:43]
	;; [unrolled: 1-line block ×3, first 2 shown]
	scratch_load_dwordx4 v[10:13], off, off offset:244 ; 16-byte Folded Reload
	scratch_load_dwordx4 v[14:17], off, off offset:260 ; 16-byte Folded Reload
	;; [unrolled: 1-line block ×8, first 2 shown]
	v_cndmask_b32_e64 v44, v54, v80, s[46:47]
	v_cndmask_b32_e64 v45, v52, v80, s[44:45]
	;; [unrolled: 1-line block ×3, first 2 shown]
	v_cndmask_b32_e32 v64, v86, v80, vcc
	v_cndmask_b32_e32 v65, v87, v81, vcc
	v_cndmask_b32_e64 v42, v128, v80, s[34:35]
	v_cndmask_b32_e64 v86, v106, v68, s[4:5]
	;; [unrolled: 1-line block ×17, first 2 shown]
	v_cndmask_b32_e32 v67, v120, v8, vcc
	v_cndmask_b32_e64 v66, v76, v8, s[34:35]
	v_cndmask_b32_e64 v43, v129, v81, s[34:35]
	;; [unrolled: 1-line block ×3, first 2 shown]
	v_cmp_eq_u32_e64 s[34:35], 3, v103
	v_cndmask_b32_e32 v71, v121, v9, vcc
	v_cmp_eq_u32_e64 s[38:39], 5, v103
	v_cmp_eq_u32_e64 s[40:41], 6, v103
	;; [unrolled: 1-line block ×5, first 2 shown]
	v_cndmask_b32_e64 v99, v155, v81, s[20:21]
	v_cndmask_b32_e64 v81, v161, v81, s[22:23]
	s_waitcnt vmcnt(5)
	v_cndmask_b32_e64 v54, v20, v8, s[46:47]
	scratch_load_dwordx4 v[10:13], off, off offset:116 ; 16-byte Folded Reload
	scratch_load_dwordx4 v[14:17], off, off offset:132 ; 16-byte Folded Reload
	;; [unrolled: 1-line block ×8, first 2 shown]
	s_waitcnt vmcnt(7)
	v_mov_b32_e32 v10, 16
	v_add3_u32 v7, v10, v7, 40
	s_waitcnt vmcnt(1)
	v_cndmask_b32_e64 v34, v162, v8, s[4:5]
	v_cndmask_b32_e64 v35, v163, v9, s[4:5]
	v_cmp_eq_u32_e64 s[4:5], 1, v100
	v_cndmask_b32_e64 v17, v164, v8, s[20:21]
	v_cndmask_b32_e64 v16, v158, v8, s[22:23]
	;; [unrolled: 1-line block ×11, first 2 shown]
	scratch_load_dword v21, v7, off
	v_cndmask_b32_e64 v0, v0, v58, s[12:13]
	v_cndmask_b32_e64 v8, v8, v58, s[38:39]
	v_cndmask_b32_e64 v0, v0, v59, s[14:15]
	v_cndmask_b32_e64 v8, v8, v59, s[40:41]
	v_cndmask_b32_e64 v0, v0, v60, s[16:17]
	v_cndmask_b32_e64 v8, v8, v60, s[42:43]
	v_cndmask_b32_e64 v1, v0, v61, s[18:19]
	v_cndmask_b32_e64 v0, v16, v17, s[4:5]
	v_cndmask_b32_e64 v9, v8, v61, s[44:45]
	v_cndmask_b32_e64 v8, v16, v17, s[26:27]
	v_cndmask_b32_e64 v0, v0, v34, s[6:7]
	v_cndmask_b32_e64 v8, v8, v34, s[30:31]
	v_cndmask_b32_e64 v0, v0, v66, s[8:9]
	v_cndmask_b32_e64 v8, v8, v66, s[34:35]
	v_cndmask_b32_e64 v0, v0, v67, s[10:11]
	v_cndmask_b32_e64 v8, v8, v67, s[36:37]
	v_cndmask_b32_e64 v0, v0, v54, s[12:13]
	v_cndmask_b32_e64 v8, v8, v54, s[38:39]
	v_cndmask_b32_e64 v0, v0, v55, s[14:15]
	v_cndmask_b32_e64 v8, v8, v55, s[40:41]
	v_cndmask_b32_e64 v0, v0, v56, s[16:17]
	v_cndmask_b32_e64 v8, v8, v56, s[42:43]
	v_cndmask_b32_e64 v0, v0, v57, s[18:19]
	v_cndmask_b32_e64 v8, v8, v57, s[44:45]
	s_waitcnt vmcnt(0)
	v_lshlrev_b32_e32 v7, 2, v21
	v_add3_u32 v7, v10, v7, 40
	scratch_load_dword v82, v7, off
	v_add_f64 v[6:7], -v[0:1], 0
	v_add_f64 v[10:11], v[8:9], -v[0:1]
	v_div_scale_f64 v[12:13], s[24:25], v[10:11], v[10:11], v[6:7]
	v_rcp_f64_e32 v[14:15], v[12:13]
	v_cmp_eq_u32_e64 s[20:21], 3, v21
	v_fma_f64 v[76:77], -v[12:13], v[14:15], 1.0
	v_fmac_f64_e32 v[14:15], v[14:15], v[76:77]
	v_fma_f64 v[76:77], -v[12:13], v[14:15], 1.0
	v_fmac_f64_e32 v[14:15], v[14:15], v[76:77]
	v_div_scale_f64 v[76:77], vcc, v[6:7], v[10:11], v[6:7]
	s_waitcnt vmcnt(0)
	scratch_store_dword off, v82, off offset:100
	v_mul_f64 v[82:83], v[76:77], v[14:15]
	v_fma_f64 v[12:13], -v[12:13], v[82:83], v[76:77]
	v_div_fmas_f64 v[12:13], v[12:13], v[14:15], v[82:83]
	v_div_fixup_f64 v[10:11], v[12:13], v[10:11], v[6:7]
	v_cndmask_b32_e64 v6, v93, v92, s[26:27]
	v_cndmask_b32_e64 v6, v6, v91, s[30:31]
	v_cndmask_b32_e64 v6, v6, v89, s[34:35]
	v_cndmask_b32_e64 v6, v6, v85, s[36:37]
	v_cndmask_b32_e64 v6, v6, v126, s[38:39]
	v_cndmask_b32_e64 v6, v6, v127, s[40:41]
	v_cndmask_b32_e64 v6, v6, v130, s[42:43]
	v_cndmask_b32_e64 v15, v6, v131, s[44:45]
	v_cndmask_b32_e64 v6, v90, v87, s[26:27]
	v_cndmask_b32_e64 v6, v6, v86, s[30:31]
	v_cndmask_b32_e64 v6, v6, v88, s[34:35]
	v_cndmask_b32_e64 v6, v6, v84, s[36:37]
	v_cndmask_b32_e64 v6, v6, v125, s[38:39]
	v_cndmask_b32_e64 v6, v6, v124, s[40:41]
	v_cndmask_b32_e64 v6, v6, v119, s[42:43]
	v_cndmask_b32_e64 v14, v6, v118, s[44:45]
	v_cndmask_b32_e64 v6, v93, v92, s[4:5]
	v_cndmask_b32_e64 v6, v6, v91, s[6:7]
	v_cndmask_b32_e64 v6, v6, v89, s[8:9]
	v_cndmask_b32_e64 v6, v6, v85, s[10:11]
	v_cndmask_b32_e64 v6, v6, v126, s[12:13]
	v_cndmask_b32_e64 v6, v6, v127, s[14:15]
	v_cndmask_b32_e64 v6, v6, v130, s[16:17]
	v_cndmask_b32_e64 v7, v6, v131, s[18:19]
	v_cndmask_b32_e64 v6, v90, v87, s[4:5]
	v_cndmask_b32_e64 v6, v6, v86, s[6:7]
	v_cndmask_b32_e64 v6, v6, v88, s[8:9]
	v_cndmask_b32_e64 v6, v6, v84, s[10:11]
	v_cndmask_b32_e64 v6, v6, v125, s[12:13]
	v_cndmask_b32_e64 v6, v6, v124, s[14:15]
	v_cndmask_b32_e64 v6, v6, v119, s[16:17]
	v_cndmask_b32_e64 v6, v6, v118, s[18:19]
	v_add_f64 v[12:13], -v[10:11], 1.0
	v_mul_f64 v[6:7], v[6:7], v[12:13]
	v_fmac_f64_e32 v[6:7], v[14:15], v[10:11]
	v_cndmask_b32_e64 v15, v89, v7, s[20:21]
	v_cndmask_b32_e64 v14, v88, v6, s[20:21]
	v_cmp_eq_u32_e32 vcc, 4, v21
	scratch_store_dwordx4 off, v[8:11], off offset:756 ; 16-byte Folded Spill
	s_nop 0
	scratch_store_dwordx4 off, v[12:15], off offset:772 ; 16-byte Folded Spill
	scratch_store_dwordx4 off, v[16:19], off offset:788 ; 16-byte Folded Spill
	;; [unrolled: 1-line block ×7, first 2 shown]
	v_cndmask_b32_e64 v14, v98, v95, s[26:27]
	v_cndmask_b32_e64 v14, v14, v94, s[30:31]
	;; [unrolled: 1-line block ×48, first 2 shown]
	v_cndmask_b32_e32 v117, v85, v7, vcc
	v_cndmask_b32_e32 v116, v84, v6, vcc
	v_mul_f64 v[14:15], v[14:15], v[12:13]
	v_fmac_f64_e32 v[14:15], v[76:77], v[10:11]
	v_cndmask_b32_e64 v76, v81, v99, s[26:27]
	v_cndmask_b32_e64 v76, v76, v80, s[30:31]
	;; [unrolled: 1-line block ×15, first 2 shown]
	v_mul_f64 v[82:83], v[82:83], v[12:13]
	v_mul_f64 v[12:13], v[0:1], v[12:13]
	v_cmp_eq_u32_e64 s[22:23], 2, v21
	v_cmp_eq_u32_e64 s[24:25], 1, v21
	v_cmp_eq_u32_e64 s[28:29], 0, v21
	v_cndmask_b32_e64 v76, v76, v47, s[44:45]
	v_fmac_f64_e32 v[12:13], v[8:9], v[10:11]
	v_cndmask_b32_e32 v9, v63, v15, vcc
	v_cndmask_b32_e32 v8, v62, v14, vcc
	v_cndmask_b32_e64 v107, v91, v7, s[22:23]
	v_cndmask_b32_e64 v106, v86, v6, s[22:23]
	v_cndmask_b32_e64 v109, v92, v7, s[24:25]
	v_cndmask_b32_e64 v108, v87, v6, s[24:25]
	v_cndmask_b32_e64 v147, v93, v7, s[28:29]
	v_cndmask_b32_e64 v146, v90, v6, s[28:29]
	v_fmac_f64_e32 v[82:83], v[76:77], v[10:11]
	scratch_store_dwordx4 off, v[0:3], off offset:1396 ; 16-byte Folded Spill
	s_nop 0
	scratch_store_dwordx4 off, v[4:7], off offset:1412 ; 16-byte Folded Spill
	scratch_store_dwordx4 off, v[8:11], off offset:1428 ; 16-byte Folded Spill
	;; [unrolled: 1-line block ×7, first 2 shown]
	v_mov_b32_e32 v9, v123
	v_cndmask_b32_e32 v87, v65, v83, vcc
	v_cndmask_b32_e32 v86, v64, v82, vcc
	v_cndmask_b32_e64 v129, v43, v83, s[20:21]
	v_cndmask_b32_e64 v128, v42, v82, s[20:21]
	;; [unrolled: 1-line block ×8, first 2 shown]
	v_cmp_eq_u32_e64 s[8:9], 8, v21
	v_cndmask_b32_e64 v164, v17, v12, s[24:25]
	s_nop 0
	v_cndmask_b32_e64 v17, v131, v7, s[8:9]
	v_cndmask_b32_e64 v91, v141, v15, s[20:21]
	;; [unrolled: 1-line block ×9, first 2 shown]
	v_cndmask_b32_e32 v121, v71, v13, vcc
	v_cndmask_b32_e32 v120, v67, v12, vcc
	v_cndmask_b32_e64 v77, v70, v13, s[20:21]
	v_cndmask_b32_e64 v76, v66, v12, s[20:21]
	;; [unrolled: 1-line block ×7, first 2 shown]
	v_cmp_eq_u32_e32 vcc, 7, v21
	v_cmp_eq_u32_e64 s[4:5], 6, v21
	v_cmp_eq_u32_e64 s[6:7], 5, v21
	scratch_store_dwordx4 off, v[0:3], off offset:2932 ; 16-byte Folded Spill
	s_nop 0
	scratch_store_dwordx4 off, v[4:7], off offset:2948 ; 16-byte Folded Spill
	scratch_store_dwordx4 off, v[8:11], off offset:2964 ; 16-byte Folded Spill
	;; [unrolled: 1-line block ×7, first 2 shown]
	v_cndmask_b32_e64 v79, v53, v83, s[8:9]
	v_cndmask_b32_e64 v16, v118, v6, s[8:9]
	scratch_store_dwordx4 off, v[0:3], off offset:3444 ; 16-byte Folded Spill
	s_nop 0
	scratch_store_dwordx4 off, v[4:7], off offset:3460 ; 16-byte Folded Spill
	scratch_store_dwordx4 off, v[8:11], off offset:3476 ; 16-byte Folded Spill
	;; [unrolled: 1-line block ×7, first 2 shown]
	v_cndmask_b32_e32 v17, v130, v7, vcc
	scratch_store_dwordx4 off, v[2:5], off offset:3060 ; 16-byte Folded Spill
	s_nop 0
	scratch_store_dwordx4 off, v[6:9], off offset:3076 ; 16-byte Folded Spill
	scratch_store_dwordx4 off, v[10:13], off offset:3092 ; 16-byte Folded Spill
	;; [unrolled: 1-line block ×7, first 2 shown]
	v_cndmask_b32_e32 v16, v119, v6, vcc
	scratch_store_dwordx4 off, v[2:5], off offset:3572 ; 16-byte Folded Spill
	s_nop 0
	scratch_store_dwordx4 off, v[6:9], off offset:3588 ; 16-byte Folded Spill
	scratch_store_dwordx4 off, v[10:13], off offset:3604 ; 16-byte Folded Spill
	scratch_store_dwordx4 off, v[14:17], off offset:3620 ; 16-byte Folded Spill
	scratch_store_dwordx4 off, v[18:21], off offset:3636 ; 16-byte Folded Spill
	scratch_store_dwordx4 off, v[22:25], off offset:3652 ; 16-byte Folded Spill
	scratch_store_dwordx4 off, v[26:29], off offset:3668 ; 16-byte Folded Spill
	scratch_store_dwordx4 off, v[30:33], off offset:3684 ; 16-byte Folded Spill
	v_cndmask_b32_e64 v17, v127, v7, s[4:5]
	scratch_store_dwordx4 off, v[4:7], off offset:3188 ; 16-byte Folded Spill
	s_nop 0
	scratch_store_dwordx4 off, v[8:11], off offset:3204 ; 16-byte Folded Spill
	scratch_store_dwordx4 off, v[12:15], off offset:3220 ; 16-byte Folded Spill
	scratch_store_dwordx4 off, v[16:19], off offset:3236 ; 16-byte Folded Spill
	scratch_store_dwordx4 off, v[20:23], off offset:3252 ; 16-byte Folded Spill
	scratch_store_dwordx4 off, v[24:27], off offset:3268 ; 16-byte Folded Spill
	scratch_store_dwordx4 off, v[28:31], off offset:3284 ; 16-byte Folded Spill
	scratch_store_dwordx4 off, v[32:35], off offset:3300 ; 16-byte Folded Spill
	v_cndmask_b32_e64 v16, v124, v6, s[4:5]
	;; [unrolled: 10-line block ×6, first 2 shown]
	scratch_store_dwordx4 off, v[0:3], off offset:2420 ; 16-byte Folded Spill
	s_nop 0
	scratch_store_dwordx4 off, v[4:7], off offset:2436 ; 16-byte Folded Spill
	scratch_store_dwordx4 off, v[8:11], off offset:2452 ; 16-byte Folded Spill
	;; [unrolled: 1-line block ×7, first 2 shown]
	v_cndmask_b32_e32 v17, v138, v15, vcc
	scratch_store_dwordx4 off, v[2:5], off offset:2036 ; 16-byte Folded Spill
	s_nop 0
	scratch_store_dwordx4 off, v[6:9], off offset:2052 ; 16-byte Folded Spill
	scratch_store_dwordx4 off, v[10:13], off offset:2068 ; 16-byte Folded Spill
	;; [unrolled: 1-line block ×7, first 2 shown]
	v_cndmask_b32_e32 v16, v134, v14, vcc
	scratch_store_dwordx4 off, v[2:5], off offset:2548 ; 16-byte Folded Spill
	s_nop 0
	scratch_store_dwordx4 off, v[6:9], off offset:2564 ; 16-byte Folded Spill
	scratch_store_dwordx4 off, v[10:13], off offset:2580 ; 16-byte Folded Spill
	scratch_store_dwordx4 off, v[14:17], off offset:2596 ; 16-byte Folded Spill
	scratch_store_dwordx4 off, v[18:21], off offset:2612 ; 16-byte Folded Spill
	scratch_store_dwordx4 off, v[22:25], off offset:2628 ; 16-byte Folded Spill
	scratch_store_dwordx4 off, v[26:29], off offset:2644 ; 16-byte Folded Spill
	scratch_store_dwordx4 off, v[30:33], off offset:2660 ; 16-byte Folded Spill
	v_cndmask_b32_e64 v17, v137, v15, s[4:5]
	scratch_store_dwordx4 off, v[4:7], off offset:2164 ; 16-byte Folded Spill
	s_nop 0
	scratch_store_dwordx4 off, v[8:11], off offset:2180 ; 16-byte Folded Spill
	scratch_store_dwordx4 off, v[12:15], off offset:2196 ; 16-byte Folded Spill
	scratch_store_dwordx4 off, v[16:19], off offset:2212 ; 16-byte Folded Spill
	scratch_store_dwordx4 off, v[20:23], off offset:2228 ; 16-byte Folded Spill
	scratch_store_dwordx4 off, v[24:27], off offset:2244 ; 16-byte Folded Spill
	scratch_store_dwordx4 off, v[28:31], off offset:2260 ; 16-byte Folded Spill
	scratch_store_dwordx4 off, v[32:35], off offset:2276 ; 16-byte Folded Spill
	v_cndmask_b32_e64 v16, v133, v14, s[4:5]
	;; [unrolled: 10-line block ×3, first 2 shown]
	scratch_store_dwordx4 off, v[0:3], off offset:2292 ; 16-byte Folded Spill
	s_nop 0
	scratch_store_dwordx4 off, v[4:7], off offset:2308 ; 16-byte Folded Spill
	scratch_store_dwordx4 off, v[8:11], off offset:2324 ; 16-byte Folded Spill
	;; [unrolled: 1-line block ×7, first 2 shown]
	scratch_load_dword v15, off, off offset:112 ; 4-byte Folded Reload
	v_cndmask_b32_e64 v10, v132, v14, s[6:7]
	s_waitcnt vmcnt(0)
	scratch_store_dwordx4 off, v[0:3], off offset:2804 ; 16-byte Folded Spill
	s_nop 0
	scratch_store_dwordx4 off, v[4:7], off offset:2820 ; 16-byte Folded Spill
	scratch_store_dwordx4 off, v[8:11], off offset:2836 ; 16-byte Folded Spill
	;; [unrolled: 1-line block ×7, first 2 shown]
	v_cndmask_b32_e64 v16, v47, v82, s[8:9]
	scratch_store_dwordx4 off, v[0:3], off offset:1268 ; 16-byte Folded Spill
	s_nop 0
	scratch_store_dwordx4 off, v[4:7], off offset:1284 ; 16-byte Folded Spill
	scratch_store_dwordx4 off, v[8:11], off offset:1300 ; 16-byte Folded Spill
	scratch_store_dwordx4 off, v[12:15], off offset:1316 ; 16-byte Folded Spill
	scratch_store_dwordx4 off, v[16:19], off offset:1332 ; 16-byte Folded Spill
	scratch_store_dwordx4 off, v[20:23], off offset:1348 ; 16-byte Folded Spill
	scratch_store_dwordx4 off, v[24:27], off offset:1364 ; 16-byte Folded Spill
	scratch_store_dwordx4 off, v[28:31], off offset:1380 ; 16-byte Folded Spill
	v_cndmask_b32_e32 v17, v52, v83, vcc
	scratch_store_dwordx4 off, v[2:5], off offset:884 ; 16-byte Folded Spill
	s_nop 0
	scratch_store_dwordx4 off, v[6:9], off offset:900 ; 16-byte Folded Spill
	scratch_store_dwordx4 off, v[10:13], off offset:916 ; 16-byte Folded Spill
	;; [unrolled: 1-line block ×7, first 2 shown]
	v_cndmask_b32_e32 v14, v46, v82, vcc
	scratch_store_dwordx4 off, v[0:3], off offset:1524 ; 16-byte Folded Spill
	s_nop 0
	scratch_store_dwordx4 off, v[4:7], off offset:1540 ; 16-byte Folded Spill
	scratch_store_dwordx4 off, v[8:11], off offset:1556 ; 16-byte Folded Spill
	scratch_store_dwordx4 off, v[12:15], off offset:1572 ; 16-byte Folded Spill
	scratch_store_dwordx4 off, v[16:19], off offset:1588 ; 16-byte Folded Spill
	scratch_store_dwordx4 off, v[20:23], off offset:1604 ; 16-byte Folded Spill
	scratch_store_dwordx4 off, v[24:27], off offset:1620 ; 16-byte Folded Spill
	scratch_store_dwordx4 off, v[28:31], off offset:1636 ; 16-byte Folded Spill
	v_cndmask_b32_e64 v17, v49, v83, s[4:5]
	scratch_store_dwordx4 off, v[4:7], off offset:1012 ; 16-byte Folded Spill
	s_nop 0
	scratch_store_dwordx4 off, v[8:11], off offset:1028 ; 16-byte Folded Spill
	scratch_store_dwordx4 off, v[12:15], off offset:1044 ; 16-byte Folded Spill
	scratch_store_dwordx4 off, v[16:19], off offset:1060 ; 16-byte Folded Spill
	scratch_store_dwordx4 off, v[20:23], off offset:1076 ; 16-byte Folded Spill
	scratch_store_dwordx4 off, v[24:27], off offset:1092 ; 16-byte Folded Spill
	scratch_store_dwordx4 off, v[28:31], off offset:1108 ; 16-byte Folded Spill
	scratch_store_dwordx4 off, v[32:35], off offset:1124 ; 16-byte Folded Spill
	v_cndmask_b32_e64 v14, v45, v82, s[4:5]
	;; [unrolled: 10-line block ×5, first 2 shown]
	v_cndmask_b32_e32 v17, v60, v13, vcc
	v_cndmask_b32_e64 v37, v61, v13, s[8:9]
	scratch_store_dwordx4 off, v[2:5], off offset:372 ; 16-byte Folded Spill
	s_nop 0
	scratch_store_dwordx4 off, v[6:9], off offset:388 ; 16-byte Folded Spill
	scratch_store_dwordx4 off, v[10:13], off offset:404 ; 16-byte Folded Spill
	;; [unrolled: 1-line block ×7, first 2 shown]
	v_cndmask_b32_e32 v14, v56, v12, vcc
	scratch_store_dwordx4 off, v[0:3], off offset:3956 ; 16-byte Folded Spill
	s_nop 0
	scratch_store_dwordx4 off, v[4:7], off offset:3972 ; 16-byte Folded Spill
	scratch_store_dwordx4 off, v[8:11], off offset:3988 ; 16-byte Folded Spill
	scratch_store_dwordx4 off, v[12:15], off offset:4004 ; 16-byte Folded Spill
	scratch_store_dwordx4 off, v[16:19], off offset:4020 ; 16-byte Folded Spill
	scratch_store_dwordx4 off, v[20:23], off offset:4036 ; 16-byte Folded Spill
	scratch_store_dwordx4 off, v[24:27], off offset:4052 ; 16-byte Folded Spill
	scratch_store_dwordx4 off, v[28:31], off offset:4068 ; 16-byte Folded Spill
	v_cndmask_b32_e64 v17, v59, v13, s[4:5]
	scratch_store_dwordx4 off, v[4:7], off offset:500 ; 16-byte Folded Spill
	s_nop 0
	scratch_store_dwordx4 off, v[8:11], off offset:516 ; 16-byte Folded Spill
	scratch_store_dwordx4 off, v[12:15], off offset:532 ; 16-byte Folded Spill
	scratch_store_dwordx4 off, v[16:19], off offset:548 ; 16-byte Folded Spill
	scratch_store_dwordx4 off, v[20:23], off offset:564 ; 16-byte Folded Spill
	scratch_store_dwordx4 off, v[24:27], off offset:580 ; 16-byte Folded Spill
	scratch_store_dwordx4 off, v[28:31], off offset:596 ; 16-byte Folded Spill
	scratch_store_dwordx4 off, v[32:35], off offset:612 ; 16-byte Folded Spill
	v_cndmask_b32_e64 v14, v55, v12, s[4:5]
	;; [unrolled: 10-line block ×4, first 2 shown]
	scratch_store_dwordx4 off, v[0:3], off offset:244 ; 16-byte Folded Spill
	s_nop 0
	scratch_store_dwordx4 off, v[4:7], off offset:260 ; 16-byte Folded Spill
	scratch_store_dwordx4 off, v[8:11], off offset:276 ; 16-byte Folded Spill
	;; [unrolled: 1-line block ×7, first 2 shown]
.LBB0_73:
	s_or_b64 exec, exec, s[54:55]
	s_mov_b64 s[4:5], 0
	scratch_store_dword off, v101, off offset:96
	s_mov_b64 s[18:19], exec
	scratch_load_dwordx4 v[38:41], off, off offset:3956 ; 16-byte Folded Reload
	scratch_load_dwordx4 v[42:45], off, off offset:3972 ; 16-byte Folded Reload
	;; [unrolled: 1-line block ×8, first 2 shown]
	s_and_b64 s[6:7], s[18:19], s[0:1]
	s_waitcnt vmcnt(4)
	v_mov_b32_e32 v22, v52
	s_mov_b64 exec, s[6:7]
	s_cbranch_execz .LBB0_83
; %bb.74:
	s_mov_b64 s[20:21], 0
	v_cmp_gt_f64_e32 vcc, 0, v[144:145]
	v_mov_b32_e32 v4, v122
	s_branch .LBB0_76
.LBB0_75:                               ;   in Loop: Header=BB0_76 Depth=1
	s_or_b64 exec, exec, s[4:5]
	s_waitcnt vmcnt(0)
	v_cmp_gt_i32_e64 s[4:5], 0, v5
	s_or_b64 s[20:21], s[4:5], s[20:21]
	v_mov_b32_e32 v4, v5
	s_andn2_b64 exec, exec, s[20:21]
	s_cbranch_execz .LBB0_82
.LBB0_76:                               ; =>This Inner Loop Header: Depth=1
	scratch_load_dwordx4 v[38:41], off, off offset:116 ; 16-byte Folded Reload
	scratch_load_dwordx4 v[42:45], off, off offset:132 ; 16-byte Folded Reload
	scratch_load_dwordx4 v[46:49], off, off offset:148 ; 16-byte Folded Reload
	scratch_load_dwordx4 v[50:53], off, off offset:164 ; 16-byte Folded Reload
	scratch_load_dwordx4 v[54:57], off, off offset:180 ; 16-byte Folded Reload
	scratch_load_dwordx4 v[58:61], off, off offset:196 ; 16-byte Folded Reload
	scratch_load_dwordx4 v[62:65], off, off offset:212 ; 16-byte Folded Reload
	scratch_load_dwordx4 v[66:69], off, off offset:228 ; 16-byte Folded Reload
	v_cmp_eq_u32_e64 s[4:5], 1, v4
	v_cmp_eq_u32_e64 s[6:7], 2, v4
	;; [unrolled: 1-line block ×3, first 2 shown]
	v_cndmask_b32_e64 v5, v159, v165, s[4:5]
	v_cndmask_b32_e64 v5, v5, v163, s[6:7]
	v_mov_b64_e32 v[10:11], v[76:77]
	v_cndmask_b32_e64 v5, v5, v11, s[8:9]
	v_cmp_eq_u32_e64 s[10:11], 4, v4
	v_cmp_eq_u32_e64 s[12:13], 5, v4
	;; [unrolled: 1-line block ×3, first 2 shown]
	v_cndmask_b32_e64 v5, v5, v121, s[10:11]
	v_cmp_eq_u32_e64 s[16:17], 7, v4
	v_cndmask_b32_e64 v6, v158, v164, s[4:5]
	v_cndmask_b32_e64 v6, v6, v162, s[6:7]
	;; [unrolled: 1-line block ×4, first 2 shown]
	v_cmp_eq_u32_e64 s[4:5], 8, v4
	s_mov_b64 s[6:7], 0
	s_waitcnt vmcnt(5)
	v_cndmask_b32_e64 v5, v5, v49, s[12:13]
	scratch_load_dwordx4 v[38:41], off, off offset:500 ; 16-byte Folded Reload
	scratch_load_dwordx4 v[42:45], off, off offset:516 ; 16-byte Folded Reload
	scratch_load_dwordx4 v[46:49], off, off offset:532 ; 16-byte Folded Reload
	scratch_load_dwordx4 v[50:53], off, off offset:548 ; 16-byte Folded Reload
	scratch_load_dwordx4 v[54:57], off, off offset:564 ; 16-byte Folded Reload
	scratch_load_dwordx4 v[58:61], off, off offset:580 ; 16-byte Folded Reload
	scratch_load_dwordx4 v[62:65], off, off offset:596 ; 16-byte Folded Reload
	scratch_load_dwordx4 v[66:69], off, off offset:612 ; 16-byte Folded Reload
	s_waitcnt vmcnt(4)
	v_cndmask_b32_e64 v5, v5, v51, s[14:15]
	scratch_load_dwordx4 v[38:41], off, off offset:372 ; 16-byte Folded Reload
	scratch_load_dwordx4 v[42:45], off, off offset:388 ; 16-byte Folded Reload
	scratch_load_dwordx4 v[46:49], off, off offset:404 ; 16-byte Folded Reload
	scratch_load_dwordx4 v[50:53], off, off offset:420 ; 16-byte Folded Reload
	scratch_load_dwordx4 v[54:57], off, off offset:436 ; 16-byte Folded Reload
	scratch_load_dwordx4 v[58:61], off, off offset:452 ; 16-byte Folded Reload
	scratch_load_dwordx4 v[62:65], off, off offset:468 ; 16-byte Folded Reload
	scratch_load_dwordx4 v[66:69], off, off offset:484 ; 16-byte Folded Reload
	;; [unrolled: 10-line block ×3, first 2 shown]
	v_cndmask_b32_e64 v7, v5, v37, s[4:5]
	s_waitcnt vmcnt(4)
	v_mov_b32_e32 v22, v52
	scratch_load_dwordx4 v[38:41], off, off offset:244 ; 16-byte Folded Reload
	scratch_load_dwordx4 v[42:45], off, off offset:260 ; 16-byte Folded Reload
	;; [unrolled: 1-line block ×8, first 2 shown]
	s_waitcnt vmcnt(5)
	v_cndmask_b32_e64 v6, v6, v48, s[12:13]
	scratch_load_dwordx4 v[38:41], off, off offset:628 ; 16-byte Folded Reload
	scratch_load_dwordx4 v[42:45], off, off offset:644 ; 16-byte Folded Reload
	;; [unrolled: 1-line block ×8, first 2 shown]
	s_waitcnt vmcnt(4)
	v_cndmask_b32_e64 v6, v6, v50, s[14:15]
	v_cndmask_b32_e64 v6, v6, v22, s[16:17]
	v_cndmask_b32_e64 v6, v6, v16, s[4:5]
	v_cmp_ngt_f64_e64 s[4:5], 0, v[6:7]
	v_lshl_add_u32 v7, v4, 2, v15
	scratch_load_dword v5, v7, off
                                        ; implicit-def: $vgpr6
	s_and_saveexec_b64 s[8:9], s[4:5]
	s_xor_b64 s[8:9], exec, s[8:9]
	s_cbranch_execnz .LBB0_79
; %bb.77:                               ;   in Loop: Header=BB0_76 Depth=1
	s_andn2_saveexec_b64 s[4:5], s[8:9]
	s_cbranch_execnz .LBB0_80
.LBB0_78:                               ;   in Loop: Header=BB0_76 Depth=1
	s_or_b64 exec, exec, s[4:5]
	s_and_saveexec_b64 s[4:5], s[6:7]
	s_cbranch_execz .LBB0_75
	s_branch .LBB0_81
.LBB0_79:                               ;   in Loop: Header=BB0_76 Depth=1
	scratch_load_dword v6, off, off offset:96
                                        ; implicit-def: $vgpr7
	s_waitcnt vmcnt(0)
	v_cmp_eq_u32_e64 s[4:5], -1, v6
	v_mov_b32_e32 v6, 0x60
	s_and_b64 s[6:7], s[4:5], exec
	s_andn2_saveexec_b64 s[4:5], s[8:9]
	s_cbranch_execz .LBB0_78
.LBB0_80:                               ;   in Loop: Header=BB0_76 Depth=1
	scratch_load_dword v8, off, off offset:100
	v_mov_b32_e32 v6, 0x64
	s_or_b64 s[6:7], s[6:7], exec
	s_waitcnt vmcnt(0)
	scratch_store_dword v7, v8, off
	s_or_b64 exec, exec, s[4:5]
	s_and_saveexec_b64 s[4:5], s[6:7]
	s_cbranch_execz .LBB0_75
.LBB0_81:                               ;   in Loop: Header=BB0_76 Depth=1
	scratch_store_dword v6, v4, off
	s_branch .LBB0_75
.LBB0_82:
	s_or_b64 exec, exec, s[20:21]
	s_and_b64 s[4:5], vcc, exec
.LBB0_83:
	s_or_b64 exec, exec, s[18:19]
	s_and_saveexec_b64 s[6:7], s[2:3]
	s_cbranch_execz .LBB0_85
; %bb.84:
	v_lshlrev_b32_e32 v4, 2, v102
	v_mov_b32_e32 v5, 16
	v_cmp_gt_f64_e32 vcc, 0, v[142:143]
	v_add3_u32 v4, v5, v4, 40
	v_lshlrev_b32_e32 v6, 2, v9
	s_or_b64 s[2:3], vcc, s[4:5]
	v_lshlrev_b32_e32 v3, 2, v21
	v_add3_u32 v6, v5, v6, 40
	v_cndmask_b32_e64 v2, v103, -1, s[2:3]
	v_add3_u32 v3, v5, v3, 40
	scratch_store_dword v4, v9, off
	scratch_store_dword v6, v21, off
	;; [unrolled: 1-line block ×3, first 2 shown]
.LBB0_85:
	s_or_b64 exec, exec, s[6:7]
	scratch_load_dword v14, off, off offset:96
	v_mov_b64_e32 v[140:141], 0
	v_mov_b64_e32 v[150:151], v[140:141]
	;; [unrolled: 1-line block ×5, first 2 shown]
	s_waitcnt vmcnt(0)
	v_cmp_lt_i32_e32 vcc, -1, v14
	s_and_saveexec_b64 s[16:17], vcc
	s_cbranch_execz .LBB0_91
; %bb.86:
	v_lshlrev_b32_e32 v2, 2, v14
	v_mov_b32_e32 v3, 16
	v_add3_u32 v2, v3, v2, 40
	scratch_load_dword v20, v2, off
	v_mov_b64_e32 v[148:149], 0
	v_mov_b64_e32 v[144:145], v[148:149]
	v_mov_b64_e32 v[142:143], v[148:149]
	v_mov_b64_e32 v[150:151], v[148:149]
	s_waitcnt vmcnt(0)
	v_lshlrev_b32_e32 v2, 2, v20
	v_add3_u32 v2, v3, v2, 40
	scratch_load_dword v13, v2, off
	s_waitcnt vmcnt(0)
	v_cmp_lt_i32_e32 vcc, -1, v13
	s_and_saveexec_b64 s[18:19], vcc
	s_cbranch_execz .LBB0_90
; %bb.87:
	scratch_load_dwordx4 v[44:47], off, off offset:756 ; 16-byte Folded Reload
	scratch_load_dwordx4 v[48:51], off, off offset:772 ; 16-byte Folded Reload
	;; [unrolled: 1-line block ×8, first 2 shown]
	v_mov_b32_e32 v101, v37
	v_cmp_eq_u32_e32 vcc, 1, v14
	v_cmp_eq_u32_e64 s[2:3], 2, v14
	v_cmp_eq_u32_e64 s[4:5], 3, v14
	v_cndmask_b32_e32 v2, v147, v109, vcc
	v_cndmask_b32_e32 v3, v146, v108, vcc
	v_cndmask_b32_e64 v2, v2, v107, s[2:3]
	v_cndmask_b32_e64 v3, v3, v106, s[2:3]
	v_cmp_eq_u32_e64 s[6:7], 4, v14
	v_mov_b64_e32 v[88:89], v[116:117]
	v_cmp_eq_u32_e64 s[8:9], 5, v14
	v_cmp_eq_u32_e64 s[10:11], 6, v14
	v_cmp_eq_u32_e64 s[12:13], 7, v14
	v_cmp_eq_u32_e64 s[14:15], 8, v14
	v_mov_b32_e32 v12, v15
	v_mov_b64_e32 v[80:81], v[90:91]
	v_mov_b32_e32 v96, v16
	v_mov_b64_e32 v[150:151], 0
	s_mov_b64 s[20:21], 0
	v_mov_b64_e32 v[142:143], v[150:151]
	v_mov_b64_e32 v[144:145], v[150:151]
	;; [unrolled: 1-line block ×3, first 2 shown]
	s_waitcnt vmcnt(6)
	v_mov_b64_e32 v[82:83], v[50:51]
	scratch_load_dwordx4 v[22:25], off, off offset:3316 ; 16-byte Folded Reload
	scratch_load_dwordx4 v[26:29], off, off offset:3332 ; 16-byte Folded Reload
	;; [unrolled: 1-line block ×8, first 2 shown]
	v_cndmask_b32_e64 v2, v2, v83, s[4:5]
	v_cndmask_b32_e64 v3, v3, v82, s[4:5]
	;; [unrolled: 1-line block ×4, first 2 shown]
	s_waitcnt vmcnt(5)
	v_mov_b32_e32 v127, v33
	scratch_load_dwordx4 v[22:25], off, off offset:3188 ; 16-byte Folded Reload
	scratch_load_dwordx4 v[26:29], off, off offset:3204 ; 16-byte Folded Reload
	scratch_load_dwordx4 v[30:33], off, off offset:3220 ; 16-byte Folded Reload
	scratch_load_dwordx4 v[34:37], off, off offset:3236 ; 16-byte Folded Reload
	scratch_load_dwordx4 v[38:41], off, off offset:3252 ; 16-byte Folded Reload
	scratch_load_dwordx4 v[42:45], off, off offset:3268 ; 16-byte Folded Reload
	scratch_load_dwordx4 v[46:49], off, off offset:3284 ; 16-byte Folded Reload
	scratch_load_dwordx4 v[50:53], off, off offset:3300 ; 16-byte Folded Reload
	v_cndmask_b32_e64 v2, v2, v127, s[8:9]
	s_waitcnt vmcnt(4)
	v_mov_b32_e32 v125, v35
	scratch_load_dwordx4 v[22:25], off, off offset:3060 ; 16-byte Folded Reload
	scratch_load_dwordx4 v[26:29], off, off offset:3076 ; 16-byte Folded Reload
	scratch_load_dwordx4 v[30:33], off, off offset:3092 ; 16-byte Folded Reload
	scratch_load_dwordx4 v[34:37], off, off offset:3108 ; 16-byte Folded Reload
	scratch_load_dwordx4 v[38:41], off, off offset:3124 ; 16-byte Folded Reload
	scratch_load_dwordx4 v[42:45], off, off offset:3140 ; 16-byte Folded Reload
	scratch_load_dwordx4 v[46:49], off, off offset:3156 ; 16-byte Folded Reload
	scratch_load_dwordx4 v[50:53], off, off offset:3172 ; 16-byte Folded Reload
	v_cndmask_b32_e64 v2, v2, v125, s[10:11]
	;; [unrolled: 11-line block ×7, first 2 shown]
	v_cndmask_b32_e32 v2, v105, v115, vcc
	v_cndmask_b32_e64 v2, v2, v113, s[2:3]
	v_cndmask_b32_e64 v2, v2, v81, s[4:5]
	s_waitcnt vmcnt(3)
	v_mov_b32_e32 v98, v38
	scratch_load_dwordx4 v[22:25], off, off offset:1396 ; 16-byte Folded Reload
	scratch_load_dwordx4 v[26:29], off, off offset:1412 ; 16-byte Folded Reload
	;; [unrolled: 1-line block ×8, first 2 shown]
	v_cndmask_b32_e64 v14, v3, v98, s[14:15]
	v_cndmask_b32_e32 v3, v104, v114, vcc
	v_cndmask_b32_e64 v3, v3, v112, s[2:3]
	v_cndmask_b32_e64 v3, v3, v80, s[4:5]
	s_waitcnt vmcnt(5)
	v_mov_b64_e32 v[8:9], v[30:31]
	scratch_load_dwordx4 v[22:25], off, off offset:2292 ; 16-byte Folded Reload
	scratch_load_dwordx4 v[26:29], off, off offset:2308 ; 16-byte Folded Reload
	;; [unrolled: 1-line block ×8, first 2 shown]
	v_cndmask_b32_e64 v2, v2, v9, s[6:7]
	v_cndmask_b32_e64 v3, v3, v8, s[6:7]
	s_waitcnt vmcnt(5)
	v_mov_b32_e32 v11, v33
	scratch_load_dwordx4 v[22:25], off, off offset:2164 ; 16-byte Folded Reload
	scratch_load_dwordx4 v[26:29], off, off offset:2180 ; 16-byte Folded Reload
	scratch_load_dwordx4 v[30:33], off, off offset:2196 ; 16-byte Folded Reload
	scratch_load_dwordx4 v[34:37], off, off offset:2212 ; 16-byte Folded Reload
	scratch_load_dwordx4 v[38:41], off, off offset:2228 ; 16-byte Folded Reload
	scratch_load_dwordx4 v[42:45], off, off offset:2244 ; 16-byte Folded Reload
	scratch_load_dwordx4 v[46:49], off, off offset:2260 ; 16-byte Folded Reload
	scratch_load_dwordx4 v[50:53], off, off offset:2276 ; 16-byte Folded Reload
	v_cndmask_b32_e64 v2, v2, v11, s[8:9]
	s_waitcnt vmcnt(4)
	v_mov_b32_e32 v99, v35
	scratch_load_dwordx4 v[22:25], off, off offset:2036 ; 16-byte Folded Reload
	scratch_load_dwordx4 v[26:29], off, off offset:2052 ; 16-byte Folded Reload
	scratch_load_dwordx4 v[30:33], off, off offset:2068 ; 16-byte Folded Reload
	scratch_load_dwordx4 v[34:37], off, off offset:2084 ; 16-byte Folded Reload
	scratch_load_dwordx4 v[38:41], off, off offset:2100 ; 16-byte Folded Reload
	scratch_load_dwordx4 v[42:45], off, off offset:2116 ; 16-byte Folded Reload
	scratch_load_dwordx4 v[46:49], off, off offset:2132 ; 16-byte Folded Reload
	scratch_load_dwordx4 v[50:53], off, off offset:2148 ; 16-byte Folded Reload
	;; [unrolled: 11-line block ×7, first 2 shown]
	v_cndmask_b32_e64 v17, v2, v95, s[14:15]
	v_cndmask_b32_e32 v2, v161, v155, vcc
	v_cndmask_b32_e64 v2, v2, v111, s[2:3]
	v_cndmask_b32_e64 v2, v2, v129, s[4:5]
	;; [unrolled: 1-line block ×3, first 2 shown]
	s_waitcnt vmcnt(3)
	v_mov_b32_e32 v78, v38
	scratch_load_dwordx4 v[36:39], off, off offset:1140 ; 16-byte Folded Reload
	scratch_load_dwordx4 v[40:43], off, off offset:1156 ; 16-byte Folded Reload
	scratch_load_dwordx4 v[44:47], off, off offset:1172 ; 16-byte Folded Reload
	scratch_load_dwordx4 v[48:51], off, off offset:1188 ; 16-byte Folded Reload
	scratch_load_dwordx4 v[52:55], off, off offset:1204 ; 16-byte Folded Reload
	scratch_load_dwordx4 v[56:59], off, off offset:1220 ; 16-byte Folded Reload
	scratch_load_dwordx4 v[60:63], off, off offset:1236 ; 16-byte Folded Reload
	scratch_load_dwordx4 v[64:67], off, off offset:1252 ; 16-byte Folded Reload
	v_cndmask_b32_e64 v16, v3, v78, s[14:15]
	v_cndmask_b32_e32 v3, v160, v154, vcc
	v_cndmask_b32_e64 v3, v3, v110, s[2:3]
	v_cndmask_b32_e64 v3, v3, v128, s[4:5]
	;; [unrolled: 1-line block ×3, first 2 shown]
	v_cmp_eq_u32_e32 vcc, 1, v20
	v_cmp_eq_u32_e64 s[2:3], 2, v20
	v_cmp_eq_u32_e64 s[4:5], 3, v20
	;; [unrolled: 1-line block ×3, first 2 shown]
	s_waitcnt vmcnt(5)
	v_mov_b32_e32 v85, v47
	scratch_load_dwordx4 v[36:39], off, off offset:1012 ; 16-byte Folded Reload
	scratch_load_dwordx4 v[40:43], off, off offset:1028 ; 16-byte Folded Reload
	;; [unrolled: 1-line block ×8, first 2 shown]
	v_cndmask_b32_e64 v2, v2, v85, s[8:9]
	s_waitcnt vmcnt(4)
	v_mov_b32_e32 v93, v49
	scratch_load_dwordx4 v[44:47], off, off offset:884 ; 16-byte Folded Reload
	scratch_load_dwordx4 v[48:51], off, off offset:900 ; 16-byte Folded Reload
	;; [unrolled: 1-line block ×16, first 2 shown]
	v_cndmask_b32_e64 v2, v2, v93, s[10:11]
	s_waitcnt vmcnt(11)
	v_mov_b32_e32 v61, v79
	v_cndmask_b32_e64 v2, v2, v59, s[12:13]
	s_waitcnt vmcnt(5)
	v_mov_b32_e32 v10, v32
	scratch_load_dwordx4 v[22:25], off, off offset:1652 ; 16-byte Folded Reload
	scratch_load_dwordx4 v[26:29], off, off offset:1668 ; 16-byte Folded Reload
	;; [unrolled: 1-line block ×8, first 2 shown]
	v_cndmask_b32_e64 v3, v3, v10, s[8:9]
	v_cndmask_b32_e64 v19, v2, v61, s[14:15]
	v_cndmask_b32_e32 v2, v105, v115, vcc
	v_cndmask_b32_e64 v2, v2, v113, s[2:3]
	v_cndmask_b32_e64 v2, v2, v81, s[4:5]
	;; [unrolled: 1-line block ×3, first 2 shown]
	v_cmp_eq_u32_e64 s[8:9], 5, v20
	s_waitcnt vmcnt(4)
	v_mov_b32_e32 v60, v34
	scratch_load_dwordx4 v[22:25], off, off offset:1524 ; 16-byte Folded Reload
	scratch_load_dwordx4 v[26:29], off, off offset:1540 ; 16-byte Folded Reload
	;; [unrolled: 1-line block ×8, first 2 shown]
	v_cndmask_b32_e64 v3, v3, v60, s[10:11]
	v_cndmask_b32_e64 v2, v2, v11, s[8:9]
	v_cmp_eq_u32_e64 s[10:11], 6, v20
	s_waitcnt vmcnt(4)
	v_mov_b32_e32 v58, v36
	scratch_load_dwordx4 v[22:25], off, off offset:1268 ; 16-byte Folded Reload
	scratch_load_dwordx4 v[26:29], off, off offset:1284 ; 16-byte Folded Reload
	;; [unrolled: 1-line block ×8, first 2 shown]
	v_cndmask_b32_e64 v3, v3, v58, s[12:13]
	v_cndmask_b32_e64 v2, v2, v99, s[10:11]
	v_cmp_eq_u32_e64 s[12:13], 7, v20
	s_waitcnt vmcnt(3)
	v_cndmask_b32_e64 v18, v3, v38, s[14:15]
	v_cndmask_b32_e32 v3, v104, v114, vcc
	v_cndmask_b32_e64 v3, v3, v112, s[2:3]
	v_cndmask_b32_e64 v3, v3, v80, s[4:5]
	;; [unrolled: 1-line block ×6, first 2 shown]
	v_cmp_eq_u32_e64 s[14:15], 8, v20
	v_cndmask_b32_e64 v3, v3, v84, s[12:13]
	v_mul_f64 v[22:23], v[18:19], v[14:15]
	v_cndmask_b32_e64 v21, v2, v95, s[14:15]
	v_cndmask_b32_e64 v20, v3, v78, s[14:15]
	v_cndmask_b32_e32 v2, v147, v109, vcc
	v_cndmask_b32_e32 v3, v146, v108, vcc
	v_cndmask_b32_e64 v2, v2, v107, s[2:3]
	v_cndmask_b32_e64 v3, v3, v106, s[2:3]
	;; [unrolled: 1-line block ×14, first 2 shown]
	v_cndmask_b32_e32 v2, v161, v155, vcc
	v_cndmask_b32_e32 v3, v160, v154, vcc
	v_cndmask_b32_e64 v2, v2, v111, s[2:3]
	v_cndmask_b32_e64 v3, v3, v110, s[2:3]
	;; [unrolled: 1-line block ×14, first 2 shown]
	v_add_f64 v[36:37], v[20:21], -v[16:17]
	v_add_f64 v[32:33], v[28:29], -v[14:15]
	v_mul_f64 v[24:25], v[16:17], v[18:19]
	v_mul_f64 v[26:27], v[18:19], v[18:19]
.LBB0_88:                               ; =>This Inner Loop Header: Depth=1
	v_cmp_eq_u32_e32 vcc, 1, v13
	v_cmp_eq_u32_e64 s[2:3], 2, v13
	v_cmp_eq_u32_e64 s[4:5], 3, v13
	;; [unrolled: 1-line block ×7, first 2 shown]
	v_lshl_add_u32 v13, v13, 2, v12
	scratch_load_dword v13, v13, off
	v_cndmask_b32_e32 v40, v147, v109, vcc
	v_cndmask_b32_e32 v41, v146, v108, vcc
	v_cndmask_b32_e64 v40, v40, v107, s[2:3]
	v_cndmask_b32_e64 v41, v41, v106, s[2:3]
	;; [unrolled: 1-line block ×11, first 2 shown]
	s_waitcnt vmcnt(3)
	v_cndmask_b32_e64 v44, v41, v100, s[12:13]
	v_cndmask_b32_e64 v41, v40, v103, s[14:15]
	;; [unrolled: 1-line block ×3, first 2 shown]
	v_cndmask_b32_e32 v44, v105, v115, vcc
	v_cndmask_b32_e32 v45, v104, v114, vcc
	v_cndmask_b32_e64 v44, v44, v113, s[2:3]
	v_cndmask_b32_e64 v45, v45, v112, s[2:3]
	;; [unrolled: 1-line block ×11, first 2 shown]
	s_waitcnt vmcnt(2)
	v_cndmask_b32_e64 v46, v45, v84, s[12:13]
	v_cndmask_b32_e64 v45, v44, v95, s[14:15]
	;; [unrolled: 1-line block ×3, first 2 shown]
	v_add_f64 v[46:47], v[40:41], -v[14:15]
	v_mul_f64 v[36:37], v[46:47], v[36:37]
	v_add_f64 v[48:49], v[44:45], -v[16:17]
	v_fma_f64 v[32:33], v[48:49], v[32:33], -v[36:37]
	v_cndmask_b32_e32 v36, v161, v155, vcc
	v_cndmask_b32_e32 v37, v160, v154, vcc
	v_cndmask_b32_e64 v36, v36, v111, s[2:3]
	v_cndmask_b32_e64 v37, v37, v110, s[2:3]
	;; [unrolled: 1-line block ×12, first 2 shown]
	s_waitcnt vmcnt(1)
	v_cndmask_b32_e64 v53, v36, v61, s[14:15]
	v_cndmask_b32_e64 v52, v37, v38, s[14:15]
	v_fma_f64 v[54:55], v[30:31], v[30:31], v[26:27]
	v_fmac_f64_e32 v[54:55], v[52:53], v[52:53]
	v_fmac_f64_e32 v[54:55], v[18:19], v[30:31]
	;; [unrolled: 1-line block ×3, first 2 shown]
	v_add_f64 v[56:57], v[18:19], v[30:31]
	v_add_f64 v[36:37], v[14:15], v[28:29]
	v_fma_f64 v[28:29], v[28:29], v[30:31], v[22:23]
	v_fmac_f64_e32 v[54:55], v[52:53], v[30:31]
	v_fma_f64 v[30:31], v[20:21], v[30:31], v[24:25]
	v_add_f64 v[20:21], v[16:17], v[20:21]
	v_add_f64 v[56:57], v[52:53], v[56:57]
	;; [unrolled: 1-line block ×4, first 2 shown]
	v_fmac_f64_e32 v[150:151], v[56:57], v[32:33]
	v_mul_f64 v[56:57], v[56:57], v[32:33]
	v_mul_f64 v[36:37], v[36:37], v[56:57]
	;; [unrolled: 1-line block ×3, first 2 shown]
	v_fmac_f64_e32 v[28:29], v[52:53], v[40:41]
	v_fmac_f64_e32 v[30:31], v[44:45], v[52:53]
	;; [unrolled: 1-line block ×5, first 2 shown]
	v_add_f64 v[142:143], v[142:143], v[36:37]
	v_add_f64 v[144:145], v[144:145], v[20:21]
	v_mov_b64_e32 v[28:29], v[40:41]
	v_mov_b64_e32 v[20:21], v[44:45]
	;; [unrolled: 1-line block ×3, first 2 shown]
	s_waitcnt vmcnt(0)
	v_cmp_gt_i32_e32 vcc, 0, v13
	v_mov_b64_e32 v[32:33], v[46:47]
	s_or_b64 s[20:21], vcc, s[20:21]
	v_mov_b64_e32 v[30:31], v[52:53]
	s_andn2_b64 exec, exec, s[20:21]
	s_cbranch_execnz .LBB0_88
; %bb.89:
	s_or_b64 exec, exec, s[20:21]
	scratch_load_dwordx4 v[38:41], off, off offset:3956 ; 16-byte Folded Reload
	scratch_load_dwordx4 v[42:45], off, off offset:3972 ; 16-byte Folded Reload
	;; [unrolled: 1-line block ×8, first 2 shown]
	v_mov_b32_e32 v37, v101
	v_mov_b32_e32 v16, v96
	s_waitcnt vmcnt(4)
	v_mov_b32_e32 v22, v52
.LBB0_90:
	s_or_b64 exec, exec, s[18:19]
.LBB0_91:
	s_or_b64 exec, exec, s[16:17]
	s_and_saveexec_b64 s[18:19], s[0:1]
	s_cbranch_execz .LBB0_95
; %bb.92:
	scratch_load_dwordx4 v[38:41], off, off offset:372 ; 16-byte Folded Reload
	scratch_load_dwordx4 v[42:45], off, off offset:388 ; 16-byte Folded Reload
	;; [unrolled: 1-line block ×8, first 2 shown]
	s_mov_b32 s22, 0x4ad4b81f
	s_mov_b64 s[20:21], 0
	s_mov_b32 s23, 0xb58dee7a
	v_mov_b32_e32 v10, 16
	v_mov_b32_e32 v11, v122
	v_mov_b64_e32 v[6:7], v[76:77]
	s_waitcnt vmcnt(4)
	v_mov_b32_e32 v17, v53
	scratch_load_dwordx4 v[38:41], off, off offset:500 ; 16-byte Folded Reload
	scratch_load_dwordx4 v[42:45], off, off offset:516 ; 16-byte Folded Reload
	scratch_load_dwordx4 v[46:49], off, off offset:532 ; 16-byte Folded Reload
	scratch_load_dwordx4 v[50:53], off, off offset:548 ; 16-byte Folded Reload
	scratch_load_dwordx4 v[54:57], off, off offset:564 ; 16-byte Folded Reload
	scratch_load_dwordx4 v[58:61], off, off offset:580 ; 16-byte Folded Reload
	scratch_load_dwordx4 v[62:65], off, off offset:596 ; 16-byte Folded Reload
	scratch_load_dwordx4 v[66:69], off, off offset:612 ; 16-byte Folded Reload
	s_waitcnt vmcnt(4)
	v_mov_b32_e32 v19, v51
	scratch_load_dwordx4 v[38:41], off, off offset:116 ; 16-byte Folded Reload
	scratch_load_dwordx4 v[42:45], off, off offset:132 ; 16-byte Folded Reload
	scratch_load_dwordx4 v[46:49], off, off offset:148 ; 16-byte Folded Reload
	scratch_load_dwordx4 v[50:53], off, off offset:164 ; 16-byte Folded Reload
	scratch_load_dwordx4 v[54:57], off, off offset:180 ; 16-byte Folded Reload
	scratch_load_dwordx4 v[58:61], off, off offset:196 ; 16-byte Folded Reload
	scratch_load_dwordx4 v[62:65], off, off offset:212 ; 16-byte Folded Reload
	scratch_load_dwordx4 v[66:69], off, off offset:228 ; 16-byte Folded Reload
	;; [unrolled: 10-line block ×5, first 2 shown]
	s_waitcnt vmcnt(5)
	v_mov_b32_e32 v18, v48
.LBB0_93:                               ; =>This Inner Loop Header: Depth=1
	v_cmp_eq_u32_e32 vcc, 1, v11
	v_cmp_eq_u32_e64 s[2:3], 2, v11
	v_cmp_eq_u32_e64 s[4:5], 3, v11
	;; [unrolled: 1-line block ×8, first 2 shown]
	v_lshl_add_u32 v11, v11, 2, v10
	scratch_load_dword v11, v11, off
	v_cndmask_b32_e32 v13, v159, v165, vcc
	v_cndmask_b32_e32 v14, v158, v164, vcc
	v_cndmask_b32_e64 v13, v13, v163, s[2:3]
	v_cndmask_b32_e64 v14, v14, v162, s[2:3]
	;; [unrolled: 1-line block ×14, first 2 shown]
	v_add_f64 v[14:15], -v[14:15], s[22:23]
	v_cndmask_b32_e32 v165, v165, v15, vcc
	v_cndmask_b32_e32 v164, v164, v14, vcc
	v_cndmask_b32_e64 v37, v37, v15, s[14:15]
	v_cndmask_b32_e64 v16, v16, v14, s[14:15]
	;; [unrolled: 1-line block ×16, first 2 shown]
	s_waitcnt vmcnt(0)
	v_cmp_gt_i32_e32 vcc, 0, v11
	s_or_b64 s[20:21], vcc, s[20:21]
	s_andn2_b64 exec, exec, s[20:21]
	s_cbranch_execnz .LBB0_93
; %bb.94:
	s_or_b64 exec, exec, s[20:21]
	v_cmp_eq_u32_e32 vcc, 1, v122
	v_cmp_eq_u32_e64 s[2:3], 2, v122
	v_cmp_eq_u32_e64 s[4:5], 3, v122
	v_cndmask_b32_e32 v10, v159, v165, vcc
	v_cndmask_b32_e64 v10, v10, v163, s[2:3]
	v_cndmask_b32_e64 v10, v10, v7, s[4:5]
	v_cmp_eq_u32_e64 s[6:7], 4, v122
	v_mov_b32_e32 v11, v21
	v_cmp_eq_u32_e64 s[8:9], 5, v122
	v_cndmask_b32_e64 v10, v10, v121, s[6:7]
	scratch_store_dwordx4 off, v[0:3], off offset:116 ; 16-byte Folded Spill
	s_nop 0
	scratch_store_dwordx4 off, v[4:7], off offset:132 ; 16-byte Folded Spill
	scratch_store_dwordx4 off, v[8:11], off offset:148 ; 16-byte Folded Spill
	;; [unrolled: 1-line block ×7, first 2 shown]
	v_cmp_eq_u32_e64 s[10:11], 6, v122
	v_cmp_eq_u32_e64 s[12:13], 7, v122
	v_cndmask_b32_e64 v10, v10, v21, s[8:9]
	v_mov_b32_e32 v13, v19
	scratch_store_dwordx4 off, v[0:3], off offset:500 ; 16-byte Folded Spill
	s_nop 0
	scratch_store_dwordx4 off, v[4:7], off offset:516 ; 16-byte Folded Spill
	scratch_store_dwordx4 off, v[8:11], off offset:532 ; 16-byte Folded Spill
	scratch_store_dwordx4 off, v[12:15], off offset:548 ; 16-byte Folded Spill
	scratch_store_dwordx4 off, v[16:19], off offset:564 ; 16-byte Folded Spill
	scratch_store_dwordx4 off, v[20:23], off offset:580 ; 16-byte Folded Spill
	scratch_store_dwordx4 off, v[24:27], off offset:596 ; 16-byte Folded Spill
	scratch_store_dwordx4 off, v[28:31], off offset:612 ; 16-byte Folded Spill
	v_cndmask_b32_e64 v10, v10, v19, s[10:11]
	v_mov_b32_e32 v15, v17
	scratch_store_dwordx4 off, v[0:3], off offset:372 ; 16-byte Folded Spill
	s_nop 0
	scratch_store_dwordx4 off, v[4:7], off offset:388 ; 16-byte Folded Spill
	scratch_store_dwordx4 off, v[8:11], off offset:404 ; 16-byte Folded Spill
	;; [unrolled: 1-line block ×7, first 2 shown]
	v_cndmask_b32_e32 v11, v158, v164, vcc
	v_cndmask_b32_e64 v11, v11, v162, s[2:3]
	v_cmp_eq_u32_e32 vcc, 8, v122
	v_cndmask_b32_e64 v11, v11, v6, s[4:5]
	v_cndmask_b32_e64 v10, v10, v17, s[12:13]
	;; [unrolled: 1-line block ×3, first 2 shown]
	v_mov_b32_e32 v14, v18
	v_mov_b64_e32 v[76:77], v[6:7]
	scratch_store_dwordx4 off, v[4:7], off offset:244 ; 16-byte Folded Spill
	s_nop 0
	scratch_store_dwordx4 off, v[8:11], off offset:260 ; 16-byte Folded Spill
	scratch_store_dwordx4 off, v[12:15], off offset:276 ; 16-byte Folded Spill
	;; [unrolled: 1-line block ×7, first 2 shown]
	v_cndmask_b32_e64 v11, v11, v18, s[8:9]
	v_mov_b32_e32 v14, v12
	scratch_store_dwordx4 off, v[2:5], off offset:628 ; 16-byte Folded Spill
	s_nop 0
	scratch_store_dwordx4 off, v[6:9], off offset:644 ; 16-byte Folded Spill
	scratch_store_dwordx4 off, v[10:13], off offset:660 ; 16-byte Folded Spill
	;; [unrolled: 1-line block ×7, first 2 shown]
	v_cndmask_b32_e64 v11, v11, v12, s[10:11]
	v_cndmask_b32_e64 v13, v11, v22, s[12:13]
	v_cndmask_b32_e32 v141, v10, v37, vcc
	v_cndmask_b32_e32 v140, v13, v16, vcc
.LBB0_95:
	s_or_b64 exec, exec, s[18:19]
	v_mov_b64_e32 v[92:93], -1
	v_mov_b32_e32 v124, -1
	v_mov_b64_e32 v[18:19], v[92:93]
	v_mov_b64_e32 v[118:119], v[140:141]
	v_mov_b32_e32 v125, -1
	s_mov_b64 s[10:11], exec
	s_and_b64 s[2:3], s[10:11], s[0:1]
	v_mov_b32_e32 v26, v16
	v_mov_b32_e32 v28, v22
	s_mov_b64 exec, s[2:3]
	s_cbranch_execz .LBB0_99
; %bb.96:
	scratch_load_dwordx4 v[38:41], off, off offset:372 ; 16-byte Folded Reload
	scratch_load_dwordx4 v[42:45], off, off offset:388 ; 16-byte Folded Reload
	;; [unrolled: 1-line block ×8, first 2 shown]
	s_mov_b64 s[12:13], 0
	v_mov_b32_e32 v124, -1
	v_mov_b32_e32 v13, 16
	v_mov_b32_e32 v17, v122
	v_mov_b32_e32 v92, -1
	v_mov_b32_e32 v18, -1
	;; [unrolled: 1-line block ×3, first 2 shown]
	v_mov_b64_e32 v[20:21], v[140:141]
	v_mov_b64_e32 v[6:7], v[76:77]
	v_mov_b32_e32 v30, v28
	v_mov_b32_e32 v16, v26
	s_waitcnt vmcnt(4)
	v_mov_b32_e32 v25, v53
	scratch_load_dwordx4 v[38:41], off, off offset:500 ; 16-byte Folded Reload
	scratch_load_dwordx4 v[42:45], off, off offset:516 ; 16-byte Folded Reload
	scratch_load_dwordx4 v[46:49], off, off offset:532 ; 16-byte Folded Reload
	scratch_load_dwordx4 v[50:53], off, off offset:548 ; 16-byte Folded Reload
	scratch_load_dwordx4 v[54:57], off, off offset:564 ; 16-byte Folded Reload
	scratch_load_dwordx4 v[58:61], off, off offset:580 ; 16-byte Folded Reload
	scratch_load_dwordx4 v[62:65], off, off offset:596 ; 16-byte Folded Reload
	scratch_load_dwordx4 v[66:69], off, off offset:612 ; 16-byte Folded Reload
	s_waitcnt vmcnt(4)
	v_mov_b32_e32 v27, v51
	scratch_load_dwordx4 v[38:41], off, off offset:116 ; 16-byte Folded Reload
	scratch_load_dwordx4 v[42:45], off, off offset:132 ; 16-byte Folded Reload
	scratch_load_dwordx4 v[46:49], off, off offset:148 ; 16-byte Folded Reload
	scratch_load_dwordx4 v[50:53], off, off offset:164 ; 16-byte Folded Reload
	scratch_load_dwordx4 v[54:57], off, off offset:180 ; 16-byte Folded Reload
	scratch_load_dwordx4 v[58:61], off, off offset:196 ; 16-byte Folded Reload
	scratch_load_dwordx4 v[62:65], off, off offset:212 ; 16-byte Folded Reload
	scratch_load_dwordx4 v[66:69], off, off offset:228 ; 16-byte Folded Reload
	;; [unrolled: 10-line block ×4, first 2 shown]
	s_waitcnt vmcnt(5)
	v_mov_b32_e32 v10, v48
.LBB0_97:                               ; =>This Inner Loop Header: Depth=1
	v_lshl_add_u32 v14, v17, 2, v13
	scratch_load_dword v19, v14, off
	v_mov_b64_e32 v[118:119], v[20:21]
	s_waitcnt vmcnt(0)
	v_cmp_gt_i32_e32 vcc, 0, v19
	s_nop 1
	v_cndmask_b32_e32 v24, v19, v122, vcc
	v_cmp_eq_u32_e64 s[2:3], 1, v24
	v_cmp_eq_u32_e64 s[4:5], 2, v24
	;; [unrolled: 1-line block ×3, first 2 shown]
	v_cndmask_b32_e64 v14, v159, v165, s[2:3]
	v_cndmask_b32_e64 v15, v158, v164, s[2:3]
	;; [unrolled: 1-line block ×5, first 2 shown]
	v_cmp_eq_u32_e64 s[2:3], 4, v24
	v_cndmask_b32_e64 v15, v15, v6, s[6:7]
	v_cmp_eq_u32_e64 s[4:5], 5, v24
	v_cndmask_b32_e64 v14, v14, v121, s[2:3]
	v_cndmask_b32_e64 v15, v15, v120, s[2:3]
	;; [unrolled: 1-line block ×3, first 2 shown]
	v_cmp_eq_u32_e64 s[2:3], 6, v24
	v_cndmask_b32_e64 v15, v15, v10, s[4:5]
	v_cmp_eq_u32_e64 s[4:5], 7, v24
	v_cndmask_b32_e64 v14, v14, v27, s[2:3]
	v_cndmask_b32_e64 v15, v15, v12, s[2:3]
	;; [unrolled: 1-line block ×4, first 2 shown]
	v_cmp_eq_u32_e64 s[2:3], 8, v24
	v_cmp_gt_f64_e64 s[4:5], 0, v[118:119]
	s_nop 0
	v_cndmask_b32_e64 v23, v14, v37, s[2:3]
	v_cndmask_b32_e64 v22, v15, v16, s[2:3]
	v_cmp_le_f64_e64 s[2:3], 0, v[118:119]
	v_cmp_gt_f64_e64 s[6:7], 0, v[22:23]
	v_cmp_le_f64_e64 s[8:9], 0, v[22:23]
	s_and_b64 s[2:3], s[2:3], s[6:7]
	s_and_b64 s[4:5], s[4:5], s[8:9]
	v_cndmask_b32_e64 v18, v18, v24, s[2:3]
	v_cndmask_b32_e64 v125, v125, v24, s[4:5]
	;; [unrolled: 1-line block ×4, first 2 shown]
	s_or_b64 s[12:13], vcc, s[12:13]
	v_mov_b32_e32 v17, v19
	v_mov_b64_e32 v[20:21], v[22:23]
	s_andn2_b64 exec, exec, s[12:13]
	s_cbranch_execnz .LBB0_97
; %bb.98:
	s_or_b64 exec, exec, s[12:13]
.LBB0_99:
	s_or_b64 exec, exec, s[10:11]
	v_cmp_lt_i32_e64 s[2:3], -1, v124
	v_mov_b32_e32 v126, -1
	v_mov_b32_e32 v17, -1
	;; [unrolled: 1-line block ×3, first 2 shown]
	s_and_saveexec_b64 s[54:55], s[2:3]
	s_cbranch_execz .LBB0_101
; %bb.100:
	scratch_load_dwordx4 v[38:41], off, off offset:116 ; 16-byte Folded Reload
	scratch_load_dwordx4 v[42:45], off, off offset:132 ; 16-byte Folded Reload
	;; [unrolled: 1-line block ×8, first 2 shown]
	v_cmp_eq_u32_e64 s[4:5], 1, v18
	v_cmp_eq_u32_e64 s[6:7], 2, v18
	;; [unrolled: 1-line block ×3, first 2 shown]
	v_cndmask_b32_e64 v13, v159, v165, s[4:5]
	v_cndmask_b32_e64 v13, v13, v163, s[6:7]
	v_cndmask_b32_e64 v13, v13, v77, s[8:9]
	v_cmp_eq_u32_e64 s[10:11], 4, v18
	v_cmp_eq_u32_e64 s[12:13], 5, v18
	v_cndmask_b32_e64 v17, v158, v164, s[4:5]
	v_cndmask_b32_e64 v13, v13, v121, s[10:11]
	;; [unrolled: 1-line block ×5, first 2 shown]
	v_cmp_eq_u32_e64 s[14:15], 6, v18
	v_cmp_eq_u32_e64 s[16:17], 7, v18
	;; [unrolled: 1-line block ×8, first 2 shown]
	v_mov_b32_e32 v96, v28
	v_mov_b32_e32 v78, v26
	v_cmp_eq_u32_e64 s[30:31], 6, v124
	v_cmp_eq_u32_e64 s[34:35], 7, v124
	;; [unrolled: 1-line block ×3, first 2 shown]
	v_mov_b32_e32 v93, v37
	v_cmp_eq_u32_e64 s[40:41], 8, v123
	v_cmp_eq_u32_e64 s[42:43], 7, v123
	;; [unrolled: 1-line block ×4, first 2 shown]
	s_waitcnt vmcnt(5)
	v_cndmask_b32_e64 v13, v13, v49, s[12:13]
	scratch_load_dwordx4 v[38:41], off, off offset:500 ; 16-byte Folded Reload
	scratch_load_dwordx4 v[42:45], off, off offset:516 ; 16-byte Folded Reload
	;; [unrolled: 1-line block ×8, first 2 shown]
	s_waitcnt vmcnt(4)
	v_mov_b32_e32 v101, v51
	scratch_load_dwordx4 v[38:41], off, off offset:372 ; 16-byte Folded Reload
	scratch_load_dwordx4 v[42:45], off, off offset:388 ; 16-byte Folded Reload
	;; [unrolled: 1-line block ×8, first 2 shown]
	v_cndmask_b32_e64 v13, v13, v101, s[14:15]
	s_waitcnt vmcnt(4)
	v_mov_b32_e32 v97, v53
	scratch_load_dwordx4 v[38:41], off, off offset:244 ; 16-byte Folded Reload
	scratch_load_dwordx4 v[42:45], off, off offset:260 ; 16-byte Folded Reload
	;; [unrolled: 1-line block ×8, first 2 shown]
	v_cndmask_b32_e64 v13, v13, v97, s[16:17]
	v_cndmask_b32_e64 v81, v13, v37, s[18:19]
	;; [unrolled: 1-line block ×6, first 2 shown]
	s_waitcnt vmcnt(5)
	v_cndmask_b32_e64 v17, v17, v48, s[12:13]
	scratch_load_dwordx4 v[38:41], off, off offset:628 ; 16-byte Folded Reload
	scratch_load_dwordx4 v[42:45], off, off offset:644 ; 16-byte Folded Reload
	;; [unrolled: 1-line block ×8, first 2 shown]
	s_waitcnt vmcnt(4)
	v_mov_b32_e32 v100, v50
	scratch_load_dwordx4 v[38:41], off, off offset:116 ; 16-byte Folded Reload
	scratch_load_dwordx4 v[42:45], off, off offset:132 ; 16-byte Folded Reload
	;; [unrolled: 1-line block ×8, first 2 shown]
	v_cndmask_b32_e64 v17, v17, v100, s[14:15]
	v_cndmask_b32_e64 v17, v17, v96, s[16:17]
	;; [unrolled: 1-line block ×7, first 2 shown]
	v_add_f64 v[22:23], -v[80:81], 0
	s_waitcnt vmcnt(5)
	v_cndmask_b32_e64 v13, v13, v49, s[28:29]
	scratch_load_dwordx4 v[38:41], off, off offset:244 ; 16-byte Folded Reload
	scratch_load_dwordx4 v[42:45], off, off offset:260 ; 16-byte Folded Reload
	scratch_load_dwordx4 v[46:49], off, off offset:276 ; 16-byte Folded Reload
	scratch_load_dwordx4 v[50:53], off, off offset:292 ; 16-byte Folded Reload
	scratch_load_dwordx4 v[54:57], off, off offset:308 ; 16-byte Folded Reload
	scratch_load_dwordx4 v[58:61], off, off offset:324 ; 16-byte Folded Reload
	scratch_load_dwordx4 v[62:65], off, off offset:340 ; 16-byte Folded Reload
	scratch_load_dwordx4 v[66:69], off, off offset:356 ; 16-byte Folded Reload
	v_cndmask_b32_e64 v13, v13, v101, s[30:31]
	v_cndmask_b32_e64 v13, v13, v97, s[34:35]
	;; [unrolled: 1-line block ×5, first 2 shown]
	s_waitcnt vmcnt(5)
	v_cndmask_b32_e64 v17, v17, v48, s[28:29]
	v_cndmask_b32_e64 v17, v17, v100, s[30:31]
	;; [unrolled: 1-line block ×4, first 2 shown]
	v_add_f64 v[24:25], v[82:83], -v[80:81]
	v_div_scale_f64 v[30:31], s[36:37], v[24:25], v[24:25], v[22:23]
	v_rcp_f64_e32 v[32:33], v[30:31]
	scratch_load_dwordx4 v[44:47], off, off offset:756 ; 16-byte Folded Reload
	scratch_load_dwordx4 v[48:51], off, off offset:772 ; 16-byte Folded Reload
	;; [unrolled: 1-line block ×8, first 2 shown]
	v_cmp_eq_u32_e64 s[36:37], 3, v123
	v_fma_f64 v[36:37], -v[30:31], v[32:33], 1.0
	v_fmac_f64_e32 v[32:33], v[32:33], v[36:37]
	v_fma_f64 v[36:37], -v[30:31], v[32:33], 1.0
	v_fmac_f64_e32 v[32:33], v[32:33], v[36:37]
	v_div_scale_f64 v[36:37], vcc, v[22:23], v[24:25], v[22:23]
	v_mul_f64 v[40:41], v[36:37], v[32:33]
	v_fma_f64 v[30:31], -v[30:31], v[40:41], v[36:37]
	s_waitcnt vmcnt(4)
	v_mov_b64_e32 v[58:59], v[50:51]
	v_div_fmas_f64 v[30:31], v[30:31], v[32:33], v[40:41]
	v_div_fixup_f64 v[84:85], v[30:31], v[24:25], v[22:23]
	scratch_load_dwordx4 v[14:17], off, off offset:3316 ; 16-byte Folded Reload
	scratch_load_dwordx4 v[18:21], off, off offset:3332 ; 16-byte Folded Reload
	;; [unrolled: 1-line block ×8, first 2 shown]
	v_cndmask_b32_e64 v13, v13, v59, s[24:25]
	v_cndmask_b32_e64 v13, v13, v117, s[26:27]
	s_waitcnt vmcnt(11)
	v_add_f64 v[62:63], -v[84:85], 1.0
	v_cmp_eq_u32_e32 vcc, 4, v123
	s_waitcnt vmcnt(5)
	v_mov_b32_e32 v57, v25
	scratch_load_dwordx4 v[14:17], off, off offset:3188 ; 16-byte Folded Reload
	scratch_load_dwordx4 v[18:21], off, off offset:3204 ; 16-byte Folded Reload
	;; [unrolled: 1-line block ×8, first 2 shown]
	s_waitcnt vmcnt(7)
	v_cndmask_b32_e64 v17, v146, v108, s[20:21]
	v_cndmask_b32_e64 v17, v17, v106, s[22:23]
	;; [unrolled: 1-line block ×5, first 2 shown]
	s_waitcnt vmcnt(4)
	v_mov_b32_e32 v61, v27
	scratch_load_dwordx4 v[20:23], off, off offset:3060 ; 16-byte Folded Reload
	scratch_load_dwordx4 v[24:27], off, off offset:3076 ; 16-byte Folded Reload
	scratch_load_dwordx4 v[28:31], off, off offset:3092 ; 16-byte Folded Reload
	scratch_load_dwordx4 v[32:35], off, off offset:3108 ; 16-byte Folded Reload
	scratch_load_dwordx4 v[36:39], off, off offset:3124 ; 16-byte Folded Reload
	scratch_load_dwordx4 v[40:43], off, off offset:3140 ; 16-byte Folded Reload
	scratch_load_dwordx4 v[44:47], off, off offset:3156 ; 16-byte Folded Reload
	scratch_load_dwordx4 v[48:51], off, off offset:3172 ; 16-byte Folded Reload
	v_cndmask_b32_e64 v13, v13, v61, s[30:31]
	s_waitcnt vmcnt(4)
	v_mov_b32_e32 v65, v35
	scratch_load_dwordx4 v[18:21], off, off offset:3828 ; 16-byte Folded Reload
	scratch_load_dwordx4 v[22:25], off, off offset:3844 ; 16-byte Folded Reload
	scratch_load_dwordx4 v[26:29], off, off offset:3860 ; 16-byte Folded Reload
	scratch_load_dwordx4 v[30:33], off, off offset:3876 ; 16-byte Folded Reload
	scratch_load_dwordx4 v[34:37], off, off offset:3892 ; 16-byte Folded Reload
	scratch_load_dwordx4 v[38:41], off, off offset:3908 ; 16-byte Folded Reload
	scratch_load_dwordx4 v[42:45], off, off offset:3924 ; 16-byte Folded Reload
	scratch_load_dwordx4 v[46:49], off, off offset:3940 ; 16-byte Folded Reload
	v_cndmask_b32_e64 v0, v13, v65, s[34:35]
	;; [unrolled: 11-line block ×4, first 2 shown]
	s_waitcnt vmcnt(4)
	v_cndmask_b32_e64 v34, v17, v38, s[34:35]
	scratch_load_dwordx4 v[2:5], off, off offset:2932 ; 16-byte Folded Reload
	scratch_load_dwordx4 v[6:9], off, off offset:2948 ; 16-byte Folded Reload
	;; [unrolled: 1-line block ×8, first 2 shown]
	s_waitcnt vmcnt(0)
	v_mov_b32_e32 v33, v19
	v_cndmask_b32_e64 v37, v0, v33, s[38:39]
	scratch_load_dwordx4 v[0:3], off, off offset:3444 ; 16-byte Folded Reload
	scratch_load_dwordx4 v[4:7], off, off offset:3460 ; 16-byte Folded Reload
	;; [unrolled: 1-line block ×8, first 2 shown]
	s_waitcnt vmcnt(4)
	v_cndmask_b32_e64 v13, v147, v109, s[4:5]
	s_waitcnt vmcnt(3)
	v_cndmask_b32_e64 v17, v146, v108, s[4:5]
	v_cndmask_b32_e64 v13, v13, v107, s[6:7]
	v_cndmask_b32_e64 v17, v17, v106, s[6:7]
	v_cndmask_b32_e64 v13, v13, v59, s[8:9]
	v_cndmask_b32_e64 v17, v17, v58, s[8:9]
	v_cndmask_b32_e64 v13, v13, v117, s[10:11]
	v_cndmask_b32_e64 v17, v17, v116, s[10:11]
	v_cndmask_b32_e64 v13, v13, v57, s[12:13]
	v_cndmask_b32_e64 v17, v17, v60, s[12:13]
	v_cndmask_b32_e64 v13, v13, v61, s[14:15]
	v_cndmask_b32_e64 v17, v17, v56, s[14:15]
	v_cndmask_b32_e64 v13, v13, v65, s[16:17]
	v_cndmask_b32_e64 v17, v17, v38, s[16:17]
	s_waitcnt vmcnt(1)
	v_cndmask_b32_e64 v25, v13, v33, s[18:19]
	v_cndmask_b32_e64 v13, v105, v115, s[20:21]
	;; [unrolled: 1-line block ×6, first 2 shown]
	v_mul_f64 v[102:103], v[24:25], v[62:63]
	v_fmac_f64_e32 v[102:103], v[36:37], v[84:85]
	v_cndmask_b32_e64 v127, v16, v102, s[40:41]
	v_cndmask_b32_e64 v130, v38, v102, s[42:43]
	;; [unrolled: 1-line block ×3, first 2 shown]
	scratch_load_dwordx4 v[14:17], off, off offset:1396 ; 16-byte Folded Reload
	scratch_load_dwordx4 v[18:21], off, off offset:1412 ; 16-byte Folded Reload
	scratch_load_dwordx4 v[22:25], off, off offset:1428 ; 16-byte Folded Reload
	scratch_load_dwordx4 v[26:29], off, off offset:1444 ; 16-byte Folded Reload
	scratch_load_dwordx4 v[30:33], off, off offset:1460 ; 16-byte Folded Reload
	scratch_load_dwordx4 v[34:37], off, off offset:1476 ; 16-byte Folded Reload
	scratch_load_dwordx4 v[38:41], off, off offset:1492 ; 16-byte Folded Reload
	scratch_load_dwordx4 v[42:45], off, off offset:1508 ; 16-byte Folded Reload
	v_cndmask_b32_e64 v133, v57, v103, s[46:47]
	v_cndmask_b32_e64 v99, v59, v103, s[36:37]
	;; [unrolled: 1-line block ×7, first 2 shown]
	v_cndmask_b32_e32 v94, v116, v102, vcc
	v_cndmask_b32_e32 v95, v117, v103, vcc
	s_waitcnt vmcnt(5)
	v_mov_b64_e32 v[54:55], v[22:23]
	scratch_load_dwordx4 v[14:17], off, off offset:2292 ; 16-byte Folded Reload
	scratch_load_dwordx4 v[18:21], off, off offset:2308 ; 16-byte Folded Reload
	scratch_load_dwordx4 v[22:25], off, off offset:2324 ; 16-byte Folded Reload
	scratch_load_dwordx4 v[26:29], off, off offset:2340 ; 16-byte Folded Reload
	scratch_load_dwordx4 v[30:33], off, off offset:2356 ; 16-byte Folded Reload
	scratch_load_dwordx4 v[34:37], off, off offset:2372 ; 16-byte Folded Reload
	scratch_load_dwordx4 v[38:41], off, off offset:2388 ; 16-byte Folded Reload
	scratch_load_dwordx4 v[42:45], off, off offset:2404 ; 16-byte Folded Reload
	v_cndmask_b32_e64 v13, v13, v55, s[26:27]
	s_waitcnt vmcnt(5)
	v_mov_b32_e32 v57, v25
	scratch_load_dwordx4 v[14:17], off, off offset:2164 ; 16-byte Folded Reload
	scratch_load_dwordx4 v[18:21], off, off offset:2180 ; 16-byte Folded Reload
	;; [unrolled: 1-line block ×8, first 2 shown]
	v_cndmask_b32_e64 v13, v13, v57, s[28:29]
	s_waitcnt vmcnt(4)
	v_mov_b32_e32 v51, v27
	scratch_load_dwordx4 v[14:17], off, off offset:2036 ; 16-byte Folded Reload
	scratch_load_dwordx4 v[18:21], off, off offset:2052 ; 16-byte Folded Reload
	;; [unrolled: 1-line block ×8, first 2 shown]
	s_waitcnt vmcnt(7)
	v_cndmask_b32_e64 v17, v104, v114, s[20:21]
	v_cndmask_b32_e64 v17, v17, v112, s[22:23]
	;; [unrolled: 1-line block ×5, first 2 shown]
	s_waitcnt vmcnt(4)
	v_mov_b32_e32 v59, v29
	scratch_load_dwordx4 v[18:21], off, off offset:2804 ; 16-byte Folded Reload
	scratch_load_dwordx4 v[22:25], off, off offset:2820 ; 16-byte Folded Reload
	scratch_load_dwordx4 v[26:29], off, off offset:2836 ; 16-byte Folded Reload
	scratch_load_dwordx4 v[30:33], off, off offset:2852 ; 16-byte Folded Reload
	scratch_load_dwordx4 v[34:37], off, off offset:2868 ; 16-byte Folded Reload
	scratch_load_dwordx4 v[38:41], off, off offset:2884 ; 16-byte Folded Reload
	scratch_load_dwordx4 v[42:45], off, off offset:2900 ; 16-byte Folded Reload
	scratch_load_dwordx4 v[46:49], off, off offset:2916 ; 16-byte Folded Reload
	v_cndmask_b32_e64 v13, v13, v59, s[34:35]
	s_waitcnt vmcnt(5)
	v_mov_b32_e32 v58, v28
	scratch_load_dwordx4 v[18:21], off, off offset:2676 ; 16-byte Folded Reload
	scratch_load_dwordx4 v[22:25], off, off offset:2692 ; 16-byte Folded Reload
	scratch_load_dwordx4 v[26:29], off, off offset:2708 ; 16-byte Folded Reload
	scratch_load_dwordx4 v[30:33], off, off offset:2724 ; 16-byte Folded Reload
	scratch_load_dwordx4 v[34:37], off, off offset:2740 ; 16-byte Folded Reload
	scratch_load_dwordx4 v[38:41], off, off offset:2756 ; 16-byte Folded Reload
	scratch_load_dwordx4 v[42:45], off, off offset:2772 ; 16-byte Folded Reload
	scratch_load_dwordx4 v[46:49], off, off offset:2788 ; 16-byte Folded Reload
	v_cndmask_b32_e64 v17, v17, v58, s[28:29]
	;; [unrolled: 11-line block ×4, first 2 shown]
	s_waitcnt vmcnt(3)
	v_mov_b32_e32 v33, v35
	s_waitcnt vmcnt(1)
	v_cndmask_b32_e64 v45, v13, v33, s[38:39]
	scratch_load_dwordx4 v[0:3], off, off offset:2420 ; 16-byte Folded Reload
	scratch_load_dwordx4 v[4:7], off, off offset:2436 ; 16-byte Folded Reload
	;; [unrolled: 1-line block ×8, first 2 shown]
	s_waitcnt vmcnt(4)
	v_cndmask_b32_e64 v13, v105, v115, s[4:5]
	s_waitcnt vmcnt(3)
	v_cndmask_b32_e64 v17, v104, v114, s[4:5]
	v_cndmask_b32_e64 v13, v13, v113, s[6:7]
	;; [unrolled: 1-line block ×20, first 2 shown]
	v_mul_f64 v[74:75], v[46:47], v[62:63]
	v_fmac_f64_e32 v[74:75], v[44:45], v[84:85]
	v_cndmask_b32_e64 v152, v16, v74, s[40:41]
	v_cndmask_b32_e64 v53, v33, v75, s[40:41]
	scratch_load_dwordx4 v[14:17], off, off offset:1140 ; 16-byte Folded Reload
	scratch_load_dwordx4 v[18:21], off, off offset:1156 ; 16-byte Folded Reload
	;; [unrolled: 1-line block ×8, first 2 shown]
	v_cndmask_b32_e64 v139, v52, v74, s[42:43]
	v_cndmask_b32_e64 v52, v59, v75, s[42:43]
	;; [unrolled: 1-line block ×4, first 2 shown]
	v_cndmask_b32_e32 v71, v55, v75, vcc
	v_cndmask_b32_e64 v138, v56, v74, s[44:45]
	v_cndmask_b32_e64 v153, v57, v75, s[46:47]
	v_cndmask_b32_e32 v70, v54, v74, vcc
	v_cndmask_b32_e64 v157, v90, v74, s[36:37]
	v_cndmask_b32_e64 v166, v91, v75, s[36:37]
	s_waitcnt vmcnt(5)
	v_mov_b32_e32 v65, v25
	scratch_load_dwordx4 v[14:17], off, off offset:1012 ; 16-byte Folded Reload
	scratch_load_dwordx4 v[18:21], off, off offset:1028 ; 16-byte Folded Reload
	;; [unrolled: 1-line block ×8, first 2 shown]
	v_cndmask_b32_e64 v13, v13, v65, s[28:29]
	s_waitcnt vmcnt(4)
	v_mov_b32_e32 v59, v27
	scratch_load_dwordx4 v[14:17], off, off offset:884 ; 16-byte Folded Reload
	scratch_load_dwordx4 v[18:21], off, off offset:900 ; 16-byte Folded Reload
	scratch_load_dwordx4 v[22:25], off, off offset:916 ; 16-byte Folded Reload
	scratch_load_dwordx4 v[26:29], off, off offset:932 ; 16-byte Folded Reload
	scratch_load_dwordx4 v[30:33], off, off offset:948 ; 16-byte Folded Reload
	scratch_load_dwordx4 v[34:37], off, off offset:964 ; 16-byte Folded Reload
	scratch_load_dwordx4 v[38:41], off, off offset:980 ; 16-byte Folded Reload
	scratch_load_dwordx4 v[42:45], off, off offset:996 ; 16-byte Folded Reload
	s_waitcnt vmcnt(7)
	v_cndmask_b32_e64 v17, v160, v154, s[20:21]
	v_cndmask_b32_e64 v17, v17, v110, s[22:23]
	;; [unrolled: 1-line block ×5, first 2 shown]
	v_cmp_eq_u32_e64 s[20:21], 1, v123
	v_cmp_eq_u32_e64 s[22:23], 0, v123
	;; [unrolled: 1-line block ×3, first 2 shown]
	s_waitcnt vmcnt(4)
	v_mov_b32_e32 v67, v29
	scratch_load_dwordx4 v[18:21], off, off offset:1780 ; 16-byte Folded Reload
	scratch_load_dwordx4 v[22:25], off, off offset:1796 ; 16-byte Folded Reload
	;; [unrolled: 1-line block ×8, first 2 shown]
	v_cndmask_b32_e64 v13, v13, v67, s[34:35]
	v_cndmask_b32_e64 v105, v105, v75, s[22:23]
	s_waitcnt vmcnt(5)
	v_mov_b32_e32 v60, v28
	scratch_load_dwordx4 v[18:21], off, off offset:1652 ; 16-byte Folded Reload
	scratch_load_dwordx4 v[22:25], off, off offset:1668 ; 16-byte Folded Reload
	;; [unrolled: 1-line block ×8, first 2 shown]
	v_cndmask_b32_e64 v17, v17, v60, s[28:29]
	s_waitcnt vmcnt(4)
	v_mov_b32_e32 v58, v30
	scratch_load_dwordx4 v[20:23], off, off offset:1524 ; 16-byte Folded Reload
	scratch_load_dwordx4 v[24:27], off, off offset:1540 ; 16-byte Folded Reload
	;; [unrolled: 1-line block ×8, first 2 shown]
	v_cndmask_b32_e64 v17, v17, v58, s[30:31]
	s_waitcnt vmcnt(4)
	v_mov_b32_e32 v35, v79
	v_cndmask_b32_e64 v55, v13, v35, s[38:39]
	v_cmp_eq_u32_e64 s[30:31], 2, v125
	v_cndmask_b32_e64 v32, v17, v34, s[34:35]
	scratch_load_dwordx4 v[0:3], off, off offset:1268 ; 16-byte Folded Reload
	scratch_load_dwordx4 v[4:7], off, off offset:1284 ; 16-byte Folded Reload
	;; [unrolled: 1-line block ×8, first 2 shown]
	s_waitcnt vmcnt(4)
	v_cndmask_b32_e64 v13, v161, v155, s[4:5]
	s_waitcnt vmcnt(3)
	v_cndmask_b32_e64 v17, v160, v154, s[4:5]
	v_cndmask_b32_e64 v13, v13, v111, s[6:7]
	;; [unrolled: 1-line block ×14, first 2 shown]
	v_mul_f64 v[18:19], v[80:81], v[62:63]
	v_fmac_f64_e32 v[18:19], v[82:83], v[84:85]
	v_mov_b32_e32 v12, 16
	v_lshl_add_u32 v13, v123, 2, v12
	v_cmp_eq_u32_e64 s[4:5], 2, v123
	v_cndmask_b32_e64 v64, v96, v18, s[42:43]
	v_cndmask_b32_e64 v68, v97, v19, s[42:43]
	;; [unrolled: 1-line block ×5, first 2 shown]
	v_cmp_eq_u32_e64 s[6:7], 2, v92
	v_cmp_eq_u32_e64 s[8:9], 3, v92
	;; [unrolled: 1-line block ×3, first 2 shown]
	v_cndmask_b32_e32 v80, v121, v19, vcc
	v_cmp_eq_u32_e64 s[10:11], 4, v92
	v_cmp_eq_u32_e64 s[12:13], 5, v92
	v_cndmask_b32_e64 v69, v93, v19, s[40:41]
	v_cmp_eq_u32_e64 s[14:15], 6, v92
	v_cmp_eq_u32_e64 s[16:17], 7, v92
	v_cndmask_b32_e64 v56, v17, v16, s[18:19]
	v_cndmask_b32_e64 v54, v32, v16, s[38:39]
	v_mul_f64 v[88:89], v[56:57], v[62:63]
	v_fmac_f64_e32 v[88:89], v[54:55], v[84:85]
	v_cndmask_b32_e64 v56, v34, v88, s[42:43]
	v_cndmask_b32_e64 v61, v35, v89, s[40:41]
	scratch_load_dwordx4 v[20:23], off, off offset:244 ; 16-byte Folded Reload
	scratch_load_dwordx4 v[24:27], off, off offset:260 ; 16-byte Folded Reload
	scratch_load_dwordx4 v[28:31], off, off offset:276 ; 16-byte Folded Reload
	scratch_load_dwordx4 v[32:35], off, off offset:292 ; 16-byte Folded Reload
	scratch_load_dwordx4 v[36:39], off, off offset:308 ; 16-byte Folded Reload
	scratch_load_dwordx4 v[40:43], off, off offset:324 ; 16-byte Folded Reload
	scratch_load_dwordx4 v[44:47], off, off offset:340 ; 16-byte Folded Reload
	scratch_load_dwordx4 v[48:51], off, off offset:356 ; 16-byte Folded Reload
	v_cndmask_b32_e64 v57, v16, v88, s[40:41]
	v_cndmask_b32_e64 v55, v58, v88, s[44:45]
	;; [unrolled: 1-line block ×5, first 2 shown]
	v_cndmask_b32_e32 v72, v86, v88, vcc
	v_cndmask_b32_e32 v73, v87, v89, vcc
	v_cndmask_b32_e64 v2, v128, v88, s[36:37]
	v_cndmask_b32_e64 v65, v78, v18, s[40:41]
	v_cndmask_b32_e64 v63, v100, v18, s[44:45]
	v_cndmask_b32_e64 v67, v101, v19, s[44:45]
	v_cndmask_b32_e64 v87, v106, v102, s[4:5]
	v_cndmask_b32_e64 v100, v107, v103, s[4:5]
	v_cndmask_b32_e64 v101, v109, v103, s[20:21]
	v_cndmask_b32_e64 v102, v147, v103, s[22:23]
	v_cndmask_b32_e64 v86, v112, v74, s[4:5]
	v_cndmask_b32_e64 v103, v113, v75, s[4:5]
	v_cndmask_b32_e64 v83, v110, v88, s[4:5]
	v_cndmask_b32_e64 v82, v154, v88, s[20:21]
	v_cndmask_b32_e64 v81, v160, v88, s[22:23]
	v_cndmask_b32_e64 v88, v111, v89, s[4:5]
	v_cndmask_b32_e64 v78, v159, v19, s[22:23]
	v_cndmask_b32_e64 v16, v78, v79, s[26:27]
	v_cndmask_b32_e64 v85, v114, v74, s[20:21]
	v_cndmask_b32_e64 v84, v104, v74, s[22:23]
	v_cndmask_b32_e64 v74, v76, v18, s[36:37]
	v_cndmask_b32_e64 v76, v77, v19, s[36:37]
	v_cndmask_b32_e64 v3, v129, v89, s[36:37]
	v_cmp_eq_u32_e64 s[36:37], 4, v125
	v_cmp_eq_u32_e64 s[38:39], 5, v125
	;; [unrolled: 1-line block ×4, first 2 shown]
	v_cndmask_b32_e64 v59, v59, v89, s[44:45]
	v_cmp_eq_u32_e64 s[18:19], 8, v92
	v_cmp_eq_u32_e64 s[44:45], 8, v125
	v_cndmask_b32_e64 v104, v115, v75, s[20:21]
	v_cndmask_b32_e32 v75, v120, v18, vcc
	v_cndmask_b32_e64 v77, v155, v89, s[20:21]
	v_cndmask_b32_e64 v89, v161, v89, s[22:23]
	s_waitcnt vmcnt(5)
	v_cndmask_b32_e64 v62, v30, v18, s[46:47]
	scratch_load_dwordx4 v[20:23], off, off offset:116 ; 16-byte Folded Reload
	scratch_load_dwordx4 v[24:27], off, off offset:132 ; 16-byte Folded Reload
	;; [unrolled: 1-line block ×8, first 2 shown]
	scratch_load_dword v29, v13, off
	s_waitcnt vmcnt(5)
	v_cndmask_b32_e64 v34, v162, v18, s[4:5]
	v_cndmask_b32_e64 v35, v163, v19, s[4:5]
	v_cmp_eq_u32_e64 s[4:5], 1, v92
	v_cndmask_b32_e64 v16, v16, v35, s[30:31]
	v_cndmask_b32_e64 v16, v16, v76, s[34:35]
	;; [unrolled: 1-line block ×10, first 2 shown]
	s_waitcnt vmcnt(0)
	v_lshl_add_u32 v12, v29, 2, v12
	scratch_load_dword v90, v12, off
	v_cndmask_b32_e64 v0, v0, v66, s[12:13]
	v_cndmask_b32_e64 v16, v16, v66, s[38:39]
	;; [unrolled: 1-line block ×24, first 2 shown]
	v_add_f64 v[12:13], -v[0:1], 0
	v_add_f64 v[18:19], v[16:17], -v[0:1]
	v_div_scale_f64 v[20:21], s[24:25], v[18:19], v[18:19], v[12:13]
	v_rcp_f64_e32 v[22:23], v[20:21]
	v_cmp_eq_u32_e64 s[20:21], 3, v29
	s_waitcnt vmcnt(0)
	scratch_store_dword off, v90, off offset:108
	v_fma_f64 v[90:91], -v[20:21], v[22:23], 1.0
	v_fmac_f64_e32 v[22:23], v[22:23], v[90:91]
	v_fma_f64 v[90:91], -v[20:21], v[22:23], 1.0
	v_fmac_f64_e32 v[22:23], v[22:23], v[90:91]
	v_div_scale_f64 v[90:91], vcc, v[12:13], v[18:19], v[12:13]
	v_mul_f64 v[92:93], v[90:91], v[22:23]
	v_fma_f64 v[20:21], -v[20:21], v[92:93], v[90:91]
	s_nop 1
	v_div_fmas_f64 v[20:21], v[20:21], v[22:23], v[92:93]
	v_div_fixup_f64 v[18:19], v[20:21], v[18:19], v[12:13]
	v_cndmask_b32_e64 v12, v102, v101, s[26:27]
	v_cndmask_b32_e64 v12, v12, v100, s[30:31]
	;; [unrolled: 1-line block ×32, first 2 shown]
	v_add_f64 v[20:21], -v[18:19], 1.0
	v_mul_f64 v[12:13], v[12:13], v[20:21]
	v_fmac_f64_e32 v[12:13], v[22:23], v[18:19]
	v_cndmask_b32_e64 v23, v99, v13, s[20:21]
	v_cndmask_b32_e64 v22, v98, v12, s[20:21]
	v_cmp_eq_u32_e32 vcc, 4, v29
	scratch_store_dwordx4 off, v[16:19], off offset:756 ; 16-byte Folded Spill
	s_nop 0
	scratch_store_dwordx4 off, v[20:23], off offset:772 ; 16-byte Folded Spill
	scratch_store_dwordx4 off, v[24:27], off offset:788 ; 16-byte Folded Spill
	;; [unrolled: 1-line block ×7, first 2 shown]
	v_cndmask_b32_e64 v22, v105, v104, s[26:27]
	v_cndmask_b32_e64 v22, v22, v103, s[30:31]
	;; [unrolled: 1-line block ×32, first 2 shown]
	v_cndmask_b32_e32 v117, v95, v13, vcc
	v_cndmask_b32_e32 v116, v94, v12, vcc
	v_cmp_eq_u32_e64 s[22:23], 2, v29
	s_nop 1
	v_cndmask_b32_e64 v106, v87, v12, s[22:23]
	v_cndmask_b32_e64 v87, v89, v77, s[26:27]
	;; [unrolled: 1-line block ×7, first 2 shown]
	v_mul_f64 v[22:23], v[22:23], v[20:21]
	v_cndmask_b32_e64 v87, v87, v60, s[42:43]
	v_fmac_f64_e32 v[22:23], v[90:91], v[18:19]
	v_cndmask_b32_e64 v91, v87, v61, s[44:45]
	v_cndmask_b32_e64 v87, v81, v82, s[26:27]
	;; [unrolled: 1-line block ×25, first 2 shown]
	v_mul_f64 v[92:93], v[92:93], v[20:21]
	v_mul_f64 v[20:21], v[0:1], v[20:21]
	v_cmp_eq_u32_e64 s[24:25], 1, v29
	v_cmp_eq_u32_e64 s[28:29], 0, v29
	v_fmac_f64_e32 v[20:21], v[16:17], v[18:19]
	v_cndmask_b32_e32 v9, v71, v23, vcc
	v_cndmask_b32_e32 v8, v70, v22, vcc
	v_cndmask_b32_e64 v107, v100, v13, s[22:23]
	v_cndmask_b32_e64 v109, v101, v13, s[24:25]
	;; [unrolled: 1-line block ×5, first 2 shown]
	v_fmac_f64_e32 v[92:93], v[90:91], v[18:19]
	scratch_store_dwordx4 off, v[0:3], off offset:1396 ; 16-byte Folded Spill
	s_nop 0
	scratch_store_dwordx4 off, v[4:7], off offset:1412 ; 16-byte Folded Spill
	scratch_store_dwordx4 off, v[8:11], off offset:1428 ; 16-byte Folded Spill
	;; [unrolled: 1-line block ×7, first 2 shown]
	v_mov_b32_e32 v17, v123
	v_cndmask_b32_e32 v87, v73, v93, vcc
	v_cndmask_b32_e64 v155, v77, v93, s[24:25]
	v_cndmask_b32_e64 v111, v88, v93, s[22:23]
	;; [unrolled: 1-line block ×6, first 2 shown]
	v_cmp_eq_u32_e64 s[8:9], 8, v29
	s_nop 1
	v_cndmask_b32_e64 v19, v136, v13, s[8:9]
	v_cndmask_b32_e64 v91, v166, v23, s[20:21]
	;; [unrolled: 1-line block ×9, first 2 shown]
	v_cndmask_b32_e32 v86, v72, v92, vcc
	v_cndmask_b32_e64 v129, v3, v93, s[20:21]
	v_cndmask_b32_e64 v128, v2, v92, s[20:21]
	v_cndmask_b32_e32 v121, v80, v21, vcc
	v_cndmask_b32_e32 v120, v75, v20, vcc
	v_cndmask_b32_e64 v77, v76, v21, s[20:21]
	v_cndmask_b32_e64 v76, v74, v20, s[20:21]
	;; [unrolled: 1-line block ×8, first 2 shown]
	v_cmp_eq_u32_e32 vcc, 7, v29
	v_cmp_eq_u32_e64 s[4:5], 6, v29
	v_cmp_eq_u32_e64 s[6:7], 5, v29
	scratch_store_dwordx4 off, v[2:5], off offset:2932 ; 16-byte Folded Spill
	s_nop 0
	scratch_store_dwordx4 off, v[6:9], off offset:2948 ; 16-byte Folded Spill
	scratch_store_dwordx4 off, v[10:13], off offset:2964 ; 16-byte Folded Spill
	;; [unrolled: 1-line block ×7, first 2 shown]
	v_cndmask_b32_e64 v79, v61, v93, s[8:9]
	v_cndmask_b32_e64 v16, v127, v12, s[8:9]
	scratch_store_dwordx4 off, v[0:3], off offset:3444 ; 16-byte Folded Spill
	s_nop 0
	scratch_store_dwordx4 off, v[4:7], off offset:3460 ; 16-byte Folded Spill
	scratch_store_dwordx4 off, v[8:11], off offset:3476 ; 16-byte Folded Spill
	;; [unrolled: 1-line block ×7, first 2 shown]
	v_cndmask_b32_e32 v15, v135, v13, vcc
	scratch_store_dwordx4 off, v[0:3], off offset:3060 ; 16-byte Folded Spill
	s_nop 0
	scratch_store_dwordx4 off, v[4:7], off offset:3076 ; 16-byte Folded Spill
	scratch_store_dwordx4 off, v[8:11], off offset:3092 ; 16-byte Folded Spill
	;; [unrolled: 1-line block ×7, first 2 shown]
	v_cndmask_b32_e32 v14, v130, v12, vcc
	scratch_store_dwordx4 off, v[0:3], off offset:3572 ; 16-byte Folded Spill
	s_nop 0
	scratch_store_dwordx4 off, v[4:7], off offset:3588 ; 16-byte Folded Spill
	scratch_store_dwordx4 off, v[8:11], off offset:3604 ; 16-byte Folded Spill
	scratch_store_dwordx4 off, v[12:15], off offset:3620 ; 16-byte Folded Spill
	scratch_store_dwordx4 off, v[16:19], off offset:3636 ; 16-byte Folded Spill
	scratch_store_dwordx4 off, v[20:23], off offset:3652 ; 16-byte Folded Spill
	scratch_store_dwordx4 off, v[24:27], off offset:3668 ; 16-byte Folded Spill
	scratch_store_dwordx4 off, v[28:31], off offset:3684 ; 16-byte Folded Spill
	v_cndmask_b32_e64 v15, v134, v13, s[4:5]
	scratch_store_dwordx4 off, v[2:5], off offset:3188 ; 16-byte Folded Spill
	s_nop 0
	scratch_store_dwordx4 off, v[6:9], off offset:3204 ; 16-byte Folded Spill
	scratch_store_dwordx4 off, v[10:13], off offset:3220 ; 16-byte Folded Spill
	scratch_store_dwordx4 off, v[14:17], off offset:3236 ; 16-byte Folded Spill
	scratch_store_dwordx4 off, v[18:21], off offset:3252 ; 16-byte Folded Spill
	scratch_store_dwordx4 off, v[22:25], off offset:3268 ; 16-byte Folded Spill
	scratch_store_dwordx4 off, v[26:29], off offset:3284 ; 16-byte Folded Spill
	scratch_store_dwordx4 off, v[30:33], off offset:3300 ; 16-byte Folded Spill
	v_cndmask_b32_e64 v14, v131, v12, s[4:5]
	;; [unrolled: 10-line block ×6, first 2 shown]
	scratch_store_dwordx4 off, v[0:3], off offset:2420 ; 16-byte Folded Spill
	s_nop 0
	scratch_store_dwordx4 off, v[4:7], off offset:2436 ; 16-byte Folded Spill
	scratch_store_dwordx4 off, v[8:11], off offset:2452 ; 16-byte Folded Spill
	;; [unrolled: 1-line block ×7, first 2 shown]
	v_cndmask_b32_e32 v15, v52, v23, vcc
	scratch_store_dwordx4 off, v[0:3], off offset:2036 ; 16-byte Folded Spill
	s_nop 0
	scratch_store_dwordx4 off, v[4:7], off offset:2052 ; 16-byte Folded Spill
	scratch_store_dwordx4 off, v[8:11], off offset:2068 ; 16-byte Folded Spill
	scratch_store_dwordx4 off, v[12:15], off offset:2084 ; 16-byte Folded Spill
	scratch_store_dwordx4 off, v[16:19], off offset:2100 ; 16-byte Folded Spill
	scratch_store_dwordx4 off, v[20:23], off offset:2116 ; 16-byte Folded Spill
	scratch_store_dwordx4 off, v[24:27], off offset:2132 ; 16-byte Folded Spill
	scratch_store_dwordx4 off, v[28:31], off offset:2148 ; 16-byte Folded Spill
	v_cndmask_b32_e32 v14, v139, v22, vcc
	scratch_store_dwordx4 off, v[0:3], off offset:2548 ; 16-byte Folded Spill
	s_nop 0
	scratch_store_dwordx4 off, v[4:7], off offset:2564 ; 16-byte Folded Spill
	scratch_store_dwordx4 off, v[8:11], off offset:2580 ; 16-byte Folded Spill
	scratch_store_dwordx4 off, v[12:15], off offset:2596 ; 16-byte Folded Spill
	scratch_store_dwordx4 off, v[16:19], off offset:2612 ; 16-byte Folded Spill
	scratch_store_dwordx4 off, v[20:23], off offset:2628 ; 16-byte Folded Spill
	scratch_store_dwordx4 off, v[24:27], off offset:2644 ; 16-byte Folded Spill
	scratch_store_dwordx4 off, v[28:31], off offset:2660 ; 16-byte Folded Spill
	v_cndmask_b32_e64 v13, v156, v23, s[4:5]
	scratch_store_dwordx4 off, v[0:3], off offset:2164 ; 16-byte Folded Spill
	s_nop 0
	scratch_store_dwordx4 off, v[4:7], off offset:2180 ; 16-byte Folded Spill
	scratch_store_dwordx4 off, v[8:11], off offset:2196 ; 16-byte Folded Spill
	scratch_store_dwordx4 off, v[12:15], off offset:2212 ; 16-byte Folded Spill
	scratch_store_dwordx4 off, v[16:19], off offset:2228 ; 16-byte Folded Spill
	scratch_store_dwordx4 off, v[20:23], off offset:2244 ; 16-byte Folded Spill
	scratch_store_dwordx4 off, v[24:27], off offset:2260 ; 16-byte Folded Spill
	scratch_store_dwordx4 off, v[28:31], off offset:2276 ; 16-byte Folded Spill
	v_cndmask_b32_e64 v12, v138, v22, s[4:5]
	;; [unrolled: 10-line block ×5, first 2 shown]
	scratch_store_dwordx4 off, v[0:3], off offset:1268 ; 16-byte Folded Spill
	s_nop 0
	scratch_store_dwordx4 off, v[4:7], off offset:1284 ; 16-byte Folded Spill
	scratch_store_dwordx4 off, v[8:11], off offset:1300 ; 16-byte Folded Spill
	;; [unrolled: 1-line block ×7, first 2 shown]
	v_cndmask_b32_e32 v19, v60, v93, vcc
	scratch_store_dwordx4 off, v[4:7], off offset:884 ; 16-byte Folded Spill
	s_nop 0
	scratch_store_dwordx4 off, v[8:11], off offset:900 ; 16-byte Folded Spill
	scratch_store_dwordx4 off, v[12:15], off offset:916 ; 16-byte Folded Spill
	;; [unrolled: 1-line block ×7, first 2 shown]
	v_cndmask_b32_e32 v14, v56, v92, vcc
	scratch_store_dwordx4 off, v[0:3], off offset:1524 ; 16-byte Folded Spill
	s_nop 0
	scratch_store_dwordx4 off, v[4:7], off offset:1540 ; 16-byte Folded Spill
	scratch_store_dwordx4 off, v[8:11], off offset:1556 ; 16-byte Folded Spill
	scratch_store_dwordx4 off, v[12:15], off offset:1572 ; 16-byte Folded Spill
	scratch_store_dwordx4 off, v[16:19], off offset:1588 ; 16-byte Folded Spill
	scratch_store_dwordx4 off, v[20:23], off offset:1604 ; 16-byte Folded Spill
	scratch_store_dwordx4 off, v[24:27], off offset:1620 ; 16-byte Folded Spill
	scratch_store_dwordx4 off, v[28:31], off offset:1636 ; 16-byte Folded Spill
	v_cndmask_b32_e64 v13, v59, v93, s[4:5]
	scratch_store_dwordx4 off, v[0:3], off offset:1012 ; 16-byte Folded Spill
	s_nop 0
	scratch_store_dwordx4 off, v[4:7], off offset:1028 ; 16-byte Folded Spill
	scratch_store_dwordx4 off, v[8:11], off offset:1044 ; 16-byte Folded Spill
	scratch_store_dwordx4 off, v[12:15], off offset:1060 ; 16-byte Folded Spill
	scratch_store_dwordx4 off, v[16:19], off offset:1076 ; 16-byte Folded Spill
	scratch_store_dwordx4 off, v[20:23], off offset:1092 ; 16-byte Folded Spill
	scratch_store_dwordx4 off, v[24:27], off offset:1108 ; 16-byte Folded Spill
	scratch_store_dwordx4 off, v[28:31], off offset:1124 ; 16-byte Folded Spill
	v_cndmask_b32_e64 v12, v55, v92, s[4:5]
	;; [unrolled: 10-line block ×4, first 2 shown]
	scratch_store_dwordx4 off, v[0:3], off offset:1780 ; 16-byte Folded Spill
	s_nop 0
	scratch_store_dwordx4 off, v[4:7], off offset:1796 ; 16-byte Folded Spill
	scratch_store_dwordx4 off, v[8:11], off offset:1812 ; 16-byte Folded Spill
	;; [unrolled: 1-line block ×7, first 2 shown]
	s_nop 0
	v_cndmask_b32_e64 v26, v65, v20, s[8:9]
	v_cndmask_b32_e32 v15, v68, v21, vcc
	v_cndmask_b32_e64 v37, v69, v21, s[8:9]
	scratch_store_dwordx4 off, v[0:3], off offset:372 ; 16-byte Folded Spill
	s_nop 0
	scratch_store_dwordx4 off, v[4:7], off offset:388 ; 16-byte Folded Spill
	scratch_store_dwordx4 off, v[8:11], off offset:404 ; 16-byte Folded Spill
	;; [unrolled: 1-line block ×7, first 2 shown]
	v_cndmask_b32_e64 v13, v67, v21, s[4:5]
	s_nop 0
	v_cndmask_b32_e32 v28, v64, v20, vcc
	scratch_store_dwordx4 off, v[0:3], off offset:500 ; 16-byte Folded Spill
	s_nop 0
	scratch_store_dwordx4 off, v[4:7], off offset:516 ; 16-byte Folded Spill
	scratch_store_dwordx4 off, v[8:11], off offset:532 ; 16-byte Folded Spill
	scratch_store_dwordx4 off, v[12:15], off offset:548 ; 16-byte Folded Spill
	scratch_store_dwordx4 off, v[16:19], off offset:564 ; 16-byte Folded Spill
	scratch_store_dwordx4 off, v[20:23], off offset:580 ; 16-byte Folded Spill
	scratch_store_dwordx4 off, v[24:27], off offset:596 ; 16-byte Folded Spill
	scratch_store_dwordx4 off, v[28:31], off offset:612 ; 16-byte Folded Spill
	v_cndmask_b32_e64 v12, v63, v20, s[4:5]
	scratch_store_dwordx4 off, v[0:3], off offset:628 ; 16-byte Folded Spill
	s_nop 0
	scratch_store_dwordx4 off, v[4:7], off offset:644 ; 16-byte Folded Spill
	scratch_store_dwordx4 off, v[8:11], off offset:660 ; 16-byte Folded Spill
	scratch_store_dwordx4 off, v[12:15], off offset:676 ; 16-byte Folded Spill
	scratch_store_dwordx4 off, v[16:19], off offset:692 ; 16-byte Folded Spill
	scratch_store_dwordx4 off, v[20:23], off offset:708 ; 16-byte Folded Spill
	scratch_store_dwordx4 off, v[24:27], off offset:724 ; 16-byte Folded Spill
	scratch_store_dwordx4 off, v[28:31], off offset:740 ; 16-byte Folded Spill
	v_cndmask_b32_e64 v11, v66, v21, s[6:7]
	;; [unrolled: 10-line block ×3, first 2 shown]
	scratch_store_dwordx4 off, v[0:3], off offset:244 ; 16-byte Folded Spill
	s_nop 0
	scratch_store_dwordx4 off, v[4:7], off offset:260 ; 16-byte Folded Spill
	scratch_store_dwordx4 off, v[8:11], off offset:276 ; 16-byte Folded Spill
	;; [unrolled: 1-line block ×7, first 2 shown]
.LBB0_101:
	s_or_b64 exec, exec, s[54:55]
	scratch_store_dword off, v126, off offset:104
	s_and_saveexec_b64 s[14:15], s[0:1]
	s_cbranch_execz .LBB0_110
; %bb.102:
	s_mov_b64 s[16:17], 0
	v_mov_b32_e32 v13, 16
	s_branch .LBB0_104
.LBB0_103:                              ;   in Loop: Header=BB0_104 Depth=1
	s_or_b64 exec, exec, s[4:5]
	s_waitcnt vmcnt(0)
	v_cmp_gt_i32_e32 vcc, 0, v16
	s_or_b64 s[16:17], vcc, s[16:17]
	v_mov_b32_e32 v122, v16
	s_andn2_b64 exec, exec, s[16:17]
	s_cbranch_execz .LBB0_110
.LBB0_104:                              ; =>This Inner Loop Header: Depth=1
	scratch_load_dwordx4 v[38:41], off, off offset:116 ; 16-byte Folded Reload
	scratch_load_dwordx4 v[42:45], off, off offset:132 ; 16-byte Folded Reload
	scratch_load_dwordx4 v[46:49], off, off offset:148 ; 16-byte Folded Reload
	scratch_load_dwordx4 v[50:53], off, off offset:164 ; 16-byte Folded Reload
	scratch_load_dwordx4 v[54:57], off, off offset:180 ; 16-byte Folded Reload
	scratch_load_dwordx4 v[58:61], off, off offset:196 ; 16-byte Folded Reload
	scratch_load_dwordx4 v[62:65], off, off offset:212 ; 16-byte Folded Reload
	scratch_load_dwordx4 v[66:69], off, off offset:228 ; 16-byte Folded Reload
	v_cmp_eq_u32_e32 vcc, 1, v122
	v_cmp_eq_u32_e64 s[0:1], 2, v122
	v_cmp_eq_u32_e64 s[4:5], 3, v122
	v_cndmask_b32_e32 v16, v159, v165, vcc
	v_cndmask_b32_e64 v16, v16, v163, s[0:1]
	v_mov_b64_e32 v[6:7], v[76:77]
	v_cndmask_b32_e64 v16, v16, v7, s[4:5]
	v_cmp_eq_u32_e64 s[6:7], 4, v122
	v_cmp_eq_u32_e64 s[8:9], 5, v122
	;; [unrolled: 1-line block ×3, first 2 shown]
	v_cndmask_b32_e64 v16, v16, v121, s[6:7]
	v_cmp_eq_u32_e64 s[12:13], 7, v122
	v_cndmask_b32_e32 v18, v158, v164, vcc
	v_cndmask_b32_e64 v18, v18, v162, s[0:1]
	v_cndmask_b32_e64 v18, v18, v6, s[4:5]
	;; [unrolled: 1-line block ×3, first 2 shown]
	v_mov_b32_e32 v14, v28
	v_cmp_eq_u32_e32 vcc, 8, v122
	s_mov_b64 s[0:1], 0
	s_waitcnt vmcnt(5)
	v_cndmask_b32_e64 v16, v16, v49, s[8:9]
	scratch_load_dwordx4 v[38:41], off, off offset:500 ; 16-byte Folded Reload
	scratch_load_dwordx4 v[42:45], off, off offset:516 ; 16-byte Folded Reload
	scratch_load_dwordx4 v[46:49], off, off offset:532 ; 16-byte Folded Reload
	scratch_load_dwordx4 v[50:53], off, off offset:548 ; 16-byte Folded Reload
	scratch_load_dwordx4 v[54:57], off, off offset:564 ; 16-byte Folded Reload
	scratch_load_dwordx4 v[58:61], off, off offset:580 ; 16-byte Folded Reload
	scratch_load_dwordx4 v[62:65], off, off offset:596 ; 16-byte Folded Reload
	scratch_load_dwordx4 v[66:69], off, off offset:612 ; 16-byte Folded Reload
	s_waitcnt vmcnt(4)
	v_cndmask_b32_e64 v16, v16, v51, s[10:11]
	scratch_load_dwordx4 v[38:41], off, off offset:372 ; 16-byte Folded Reload
	scratch_load_dwordx4 v[42:45], off, off offset:388 ; 16-byte Folded Reload
	scratch_load_dwordx4 v[46:49], off, off offset:404 ; 16-byte Folded Reload
	scratch_load_dwordx4 v[50:53], off, off offset:420 ; 16-byte Folded Reload
	scratch_load_dwordx4 v[54:57], off, off offset:436 ; 16-byte Folded Reload
	scratch_load_dwordx4 v[58:61], off, off offset:452 ; 16-byte Folded Reload
	scratch_load_dwordx4 v[62:65], off, off offset:468 ; 16-byte Folded Reload
	scratch_load_dwordx4 v[66:69], off, off offset:484 ; 16-byte Folded Reload
	s_waitcnt vmcnt(4)
	v_cndmask_b32_e64 v16, v16, v53, s[12:13]
	scratch_load_dwordx4 v[38:41], off, off offset:244 ; 16-byte Folded Reload
	scratch_load_dwordx4 v[42:45], off, off offset:260 ; 16-byte Folded Reload
	scratch_load_dwordx4 v[46:49], off, off offset:276 ; 16-byte Folded Reload
	scratch_load_dwordx4 v[50:53], off, off offset:292 ; 16-byte Folded Reload
	scratch_load_dwordx4 v[54:57], off, off offset:308 ; 16-byte Folded Reload
	scratch_load_dwordx4 v[58:61], off, off offset:324 ; 16-byte Folded Reload
	scratch_load_dwordx4 v[62:65], off, off offset:340 ; 16-byte Folded Reload
	scratch_load_dwordx4 v[66:69], off, off offset:356 ; 16-byte Folded Reload
	v_cndmask_b32_e32 v19, v16, v37, vcc
	v_mov_b32_e32 v16, v26
	s_waitcnt vmcnt(5)
	v_cndmask_b32_e64 v18, v18, v48, s[8:9]
	scratch_load_dwordx4 v[38:41], off, off offset:628 ; 16-byte Folded Reload
	scratch_load_dwordx4 v[42:45], off, off offset:644 ; 16-byte Folded Reload
	;; [unrolled: 1-line block ×8, first 2 shown]
	s_waitcnt vmcnt(4)
	v_cndmask_b32_e64 v18, v18, v50, s[10:11]
	v_cndmask_b32_e64 v18, v18, v14, s[12:13]
	v_cndmask_b32_e32 v18, v18, v16, vcc
	v_cmp_ngt_f64_e32 vcc, 0, v[18:19]
	v_lshl_add_u32 v19, v122, 2, v13
	scratch_load_dword v16, v19, off
                                        ; implicit-def: $vgpr18
	s_and_saveexec_b64 s[4:5], vcc
	s_xor_b64 s[4:5], exec, s[4:5]
	s_cbranch_execnz .LBB0_107
; %bb.105:                              ;   in Loop: Header=BB0_104 Depth=1
	s_andn2_saveexec_b64 s[4:5], s[4:5]
	s_cbranch_execnz .LBB0_108
.LBB0_106:                              ;   in Loop: Header=BB0_104 Depth=1
	s_or_b64 exec, exec, s[4:5]
	s_and_saveexec_b64 s[4:5], s[0:1]
	s_cbranch_execz .LBB0_103
	s_branch .LBB0_109
.LBB0_107:                              ;   in Loop: Header=BB0_104 Depth=1
	scratch_load_dword v18, off, off offset:104
                                        ; implicit-def: $vgpr19
	s_waitcnt vmcnt(0)
	v_cmp_eq_u32_e32 vcc, -1, v18
	v_mov_b32_e32 v18, 0x68
	s_and_b64 s[0:1], vcc, exec
	s_andn2_saveexec_b64 s[4:5], s[4:5]
	s_cbranch_execz .LBB0_106
.LBB0_108:                              ;   in Loop: Header=BB0_104 Depth=1
	scratch_load_dword v20, off, off offset:108
	v_mov_b32_e32 v18, 0x6c
	s_or_b64 s[0:1], s[0:1], exec
	s_waitcnt vmcnt(0)
	scratch_store_dword v19, v20, off
	s_or_b64 exec, exec, s[4:5]
	s_and_saveexec_b64 s[4:5], s[0:1]
	s_cbranch_execz .LBB0_103
.LBB0_109:                              ;   in Loop: Header=BB0_104 Depth=1
	scratch_store_dword v18, v122, off
	s_branch .LBB0_103
.LBB0_110:
	s_or_b64 exec, exec, s[14:15]
	s_and_saveexec_b64 s[0:1], s[2:3]
	s_cbranch_execz .LBB0_112
; %bb.111:
	v_max_f64 v[10:11], v[140:141], v[140:141]
	v_max_f64 v[12:13], v[118:119], v[118:119]
	v_mov_b32_e32 v16, 16
	v_min_f64 v[10:11], v[12:13], v[10:11]
	v_lshl_add_u32 v18, v124, 2, v16
	v_cmp_ngt_f64_e32 vcc, 0, v[10:11]
	v_lshl_add_u32 v19, v17, 2, v16
	v_lshl_add_u32 v11, v29, 2, v16
	v_cndmask_b32_e32 v10, -1, v125, vcc
	scratch_store_dword v18, v17, off
	scratch_store_dword v19, v29, off
	;; [unrolled: 1-line block ×3, first 2 shown]
.LBB0_112:
	s_or_b64 exec, exec, s[0:1]
	scratch_load_dword v10, off, off offset:104
	s_waitcnt vmcnt(0)
	v_cmp_lt_i32_e32 vcc, -1, v10
	s_and_saveexec_b64 s[16:17], vcc
	s_cbranch_execz .LBB0_116
; %bb.113:
	scratch_load_dwordx4 v[44:47], off, off offset:756 ; 16-byte Folded Reload
	scratch_load_dwordx4 v[48:51], off, off offset:772 ; 16-byte Folded Reload
	;; [unrolled: 1-line block ×8, first 2 shown]
	v_mov_b32_e32 v35, v79
	s_mov_b64 s[18:19], 0
	v_mov_b32_e32 v11, 16
	v_mov_b32_e32 v12, v10
	v_mov_b64_e32 v[20:21], v[116:117]
	v_mov_b64_e32 v[22:23], v[90:91]
	s_waitcnt vmcnt(6)
	v_mov_b64_e32 v[18:19], v[50:51]
	scratch_load_dwordx4 v[36:39], off, off offset:884 ; 16-byte Folded Reload
	scratch_load_dwordx4 v[40:43], off, off offset:900 ; 16-byte Folded Reload
	scratch_load_dwordx4 v[44:47], off, off offset:916 ; 16-byte Folded Reload
	scratch_load_dwordx4 v[48:51], off, off offset:932 ; 16-byte Folded Reload
	scratch_load_dwordx4 v[52:55], off, off offset:948 ; 16-byte Folded Reload
	scratch_load_dwordx4 v[56:59], off, off offset:964 ; 16-byte Folded Reload
	scratch_load_dwordx4 v[60:63], off, off offset:980 ; 16-byte Folded Reload
	scratch_load_dwordx4 v[64:67], off, off offset:996 ; 16-byte Folded Reload
	s_waitcnt vmcnt(4)
	v_mov_b32_e32 v25, v51
	scratch_load_dwordx4 v[36:39], off, off offset:1012 ; 16-byte Folded Reload
	scratch_load_dwordx4 v[40:43], off, off offset:1028 ; 16-byte Folded Reload
	scratch_load_dwordx4 v[44:47], off, off offset:1044 ; 16-byte Folded Reload
	scratch_load_dwordx4 v[48:51], off, off offset:1060 ; 16-byte Folded Reload
	scratch_load_dwordx4 v[52:55], off, off offset:1076 ; 16-byte Folded Reload
	scratch_load_dwordx4 v[56:59], off, off offset:1092 ; 16-byte Folded Reload
	scratch_load_dwordx4 v[60:63], off, off offset:1108 ; 16-byte Folded Reload
	scratch_load_dwordx4 v[64:67], off, off offset:1124 ; 16-byte Folded Reload
	s_waitcnt vmcnt(4)
	v_mov_b32_e32 v27, v49
	;; [unrolled: 10-line block ×4, first 2 shown]
	scratch_load_dwordx4 v[36:39], off, off offset:1396 ; 16-byte Folded Reload
	scratch_load_dwordx4 v[40:43], off, off offset:1412 ; 16-byte Folded Reload
	;; [unrolled: 1-line block ×8, first 2 shown]
	s_waitcnt vmcnt(5)
	v_mov_b64_e32 v[8:9], v[44:45]
	scratch_load_dwordx4 v[36:39], off, off offset:1524 ; 16-byte Folded Reload
	scratch_load_dwordx4 v[40:43], off, off offset:1540 ; 16-byte Folded Reload
	scratch_load_dwordx4 v[44:47], off, off offset:1556 ; 16-byte Folded Reload
	scratch_load_dwordx4 v[48:51], off, off offset:1572 ; 16-byte Folded Reload
	scratch_load_dwordx4 v[52:55], off, off offset:1588 ; 16-byte Folded Reload
	scratch_load_dwordx4 v[56:59], off, off offset:1604 ; 16-byte Folded Reload
	scratch_load_dwordx4 v[60:63], off, off offset:1620 ; 16-byte Folded Reload
	scratch_load_dwordx4 v[64:67], off, off offset:1636 ; 16-byte Folded Reload
	s_waitcnt vmcnt(4)
	v_mov_b32_e32 v26, v50
	scratch_load_dwordx4 v[36:39], off, off offset:1652 ; 16-byte Folded Reload
	scratch_load_dwordx4 v[40:43], off, off offset:1668 ; 16-byte Folded Reload
	scratch_load_dwordx4 v[44:47], off, off offset:1684 ; 16-byte Folded Reload
	scratch_load_dwordx4 v[48:51], off, off offset:1700 ; 16-byte Folded Reload
	scratch_load_dwordx4 v[52:55], off, off offset:1716 ; 16-byte Folded Reload
	scratch_load_dwordx4 v[56:59], off, off offset:1732 ; 16-byte Folded Reload
	scratch_load_dwordx4 v[60:63], off, off offset:1748 ; 16-byte Folded Reload
	scratch_load_dwordx4 v[64:67], off, off offset:1764 ; 16-byte Folded Reload
	s_waitcnt vmcnt(4)
	v_mov_b32_e32 v28, v48
	;; [unrolled: 10-line block ×19, first 2 shown]
.LBB0_114:                              ; =>This Inner Loop Header: Depth=1
	v_cmp_eq_u32_e32 vcc, 1, v12
	v_cmp_eq_u32_e64 s[0:1], 2, v12
	v_cmp_eq_u32_e64 s[2:3], 3, v12
	;; [unrolled: 1-line block ×8, first 2 shown]
	v_lshl_add_u32 v12, v12, 2, v11
	scratch_load_dword v12, v12, off
	v_cndmask_b32_e32 v13, v147, v109, vcc
	v_cndmask_b32_e64 v13, v13, v107, s[0:1]
	v_cndmask_b32_e64 v13, v13, v19, s[2:3]
	;; [unrolled: 1-line block ×5, first 2 shown]
	v_cndmask_b32_e32 v14, v146, v108, vcc
	v_cndmask_b32_e64 v13, v13, v43, s[10:11]
	v_cndmask_b32_e64 v14, v14, v106, s[0:1]
	;; [unrolled: 1-line block ×3, first 2 shown]
	v_cndmask_b32_e32 v13, v105, v115, vcc
	v_cndmask_b32_e32 v16, v104, v114, vcc
	v_cndmask_b32_e64 v14, v14, v18, s[2:3]
	v_cndmask_b32_e64 v13, v13, v113, s[0:1]
	;; [unrolled: 1-line block ×20, first 2 shown]
	v_add_f64 v[14:15], -v[14:15], 1.0
	v_add_f64 v[14:15], v[14:15], -v[16:17]
	v_cndmask_b32_e32 v155, v155, v15, vcc
	v_cndmask_b32_e32 v154, v154, v14, vcc
	v_cndmask_b32_e64 v35, v35, v15, s[12:13]
	v_cndmask_b32_e64 v24, v24, v14, s[12:13]
	v_cndmask_b32_e64 v25, v25, v15, s[10:11]
	v_cndmask_b32_e64 v26, v26, v14, s[10:11]
	v_cndmask_b32_e64 v27, v27, v15, s[8:9]
	v_cndmask_b32_e64 v28, v28, v14, s[8:9]
	v_cndmask_b32_e64 v29, v29, v15, s[6:7]
	v_cndmask_b32_e64 v30, v30, v14, s[6:7]
	v_cndmask_b32_e64 v87, v87, v15, s[4:5]
	v_cndmask_b32_e64 v86, v86, v14, s[4:5]
	v_cndmask_b32_e64 v129, v129, v15, s[2:3]
	v_cndmask_b32_e64 v128, v128, v14, s[2:3]
	v_cndmask_b32_e64 v111, v111, v15, s[0:1]
	v_cndmask_b32_e64 v110, v110, v14, s[0:1]
	v_cndmask_b32_e64 v161, v161, v15, s[14:15]
	v_cndmask_b32_e64 v160, v160, v14, s[14:15]
	s_waitcnt vmcnt(0)
	v_cmp_gt_i32_e32 vcc, 0, v12
	s_or_b64 s[18:19], vcc, s[18:19]
	s_andn2_b64 exec, exec, s[18:19]
	s_cbranch_execnz .LBB0_114
; %bb.115:
	s_or_b64 exec, exec, s[18:19]
	scratch_store_dwordx4 off, v[20:23], off offset:1780 ; 16-byte Folded Spill
	s_nop 0
	scratch_store_dwordx4 off, v[24:27], off offset:1796 ; 16-byte Folded Spill
	scratch_store_dwordx4 off, v[28:31], off offset:1812 ; 16-byte Folded Spill
	scratch_store_dwordx4 off, v[32:35], off offset:1828 ; 16-byte Folded Spill
	scratch_store_dwordx4 off, v[36:39], off offset:1844 ; 16-byte Folded Spill
	scratch_store_dwordx4 off, v[40:43], off offset:1860 ; 16-byte Folded Spill
	scratch_store_dwordx4 off, v[44:47], off offset:1876 ; 16-byte Folded Spill
	scratch_store_dwordx4 off, v[48:51], off offset:1892 ; 16-byte Folded Spill
	scratch_store_dwordx4 off, v[16:19], off offset:1652 ; 16-byte Folded Spill
	s_nop 0
	scratch_store_dwordx4 off, v[20:23], off offset:1668 ; 16-byte Folded Spill
	scratch_store_dwordx4 off, v[24:27], off offset:1684 ; 16-byte Folded Spill
	scratch_store_dwordx4 off, v[28:31], off offset:1700 ; 16-byte Folded Spill
	scratch_store_dwordx4 off, v[32:35], off offset:1716 ; 16-byte Folded Spill
	scratch_store_dwordx4 off, v[36:39], off offset:1732 ; 16-byte Folded Spill
	scratch_store_dwordx4 off, v[40:43], off offset:1748 ; 16-byte Folded Spill
	scratch_store_dwordx4 off, v[44:47], off offset:1764 ; 16-byte Folded Spill
	;; [unrolled: 9-line block ×7, first 2 shown]
	v_mov_b32_e32 v79, v35
.LBB0_116:
	s_or_b64 exec, exec, s[16:17]
	v_cmp_lt_i32_e32 vcc, -1, v10
	s_and_saveexec_b64 s[14:15], vcc
	s_cbranch_execz .LBB0_122
; %bb.117:
	v_mov_b32_e32 v0, 16
	v_lshl_add_u32 v11, v10, 2, v0
	scratch_load_dword v16, v11, off
	s_waitcnt vmcnt(0)
	v_lshl_add_u32 v11, v16, 2, v0
	scratch_load_dword v1, v11, off
	s_waitcnt vmcnt(0)
	v_cmp_lt_i32_e32 vcc, -1, v1
	s_and_saveexec_b64 s[16:17], vcc
	s_cbranch_execz .LBB0_121
; %bb.118:
	scratch_load_dwordx4 v[46:49], off, off offset:756 ; 16-byte Folded Reload
	scratch_load_dwordx4 v[50:53], off, off offset:772 ; 16-byte Folded Reload
	;; [unrolled: 1-line block ×16, first 2 shown]
	v_cmp_eq_u32_e32 vcc, 1, v10
	v_cmp_eq_u32_e64 s[0:1], 2, v10
	v_cmp_eq_u32_e64 s[2:3], 3, v10
	v_cndmask_b32_e32 v12, v105, v115, vcc
	v_cndmask_b32_e32 v13, v104, v114, vcc
	v_cndmask_b32_e64 v12, v12, v113, s[0:1]
	v_cndmask_b32_e64 v13, v13, v112, s[0:1]
	v_cmp_eq_u32_e64 s[4:5], 4, v10
	v_cndmask_b32_e64 v12, v12, v91, s[2:3]
	v_cndmask_b32_e64 v13, v13, v90, s[2:3]
	v_cmp_eq_u32_e64 s[6:7], 5, v10
	v_cmp_eq_u32_e64 s[8:9], 6, v10
	;; [unrolled: 1-line block ×4, first 2 shown]
	v_cndmask_b32_e32 v11, v147, v109, vcc
	v_cndmask_b32_e32 v10, v146, v108, vcc
	;; [unrolled: 1-line block ×3, first 2 shown]
	v_cndmask_b32_e64 v11, v11, v107, s[0:1]
	v_cndmask_b32_e64 v10, v10, v106, s[0:1]
	v_cndmask_b32_e64 v15, v15, v110, s[0:1]
	v_cndmask_b32_e64 v15, v15, v128, s[2:3]
	v_cndmask_b32_e64 v15, v15, v86, s[4:5]
	s_mov_b64 s[18:19], 0
	s_waitcnt vmcnt(10)
	v_mov_b64_e32 v[68:69], v[52:53]
	s_waitcnt vmcnt(5)
	v_mov_b32_e32 v95, v29
	scratch_load_dwordx4 v[18:21], off, off offset:3188 ; 16-byte Folded Reload
	scratch_load_dwordx4 v[22:25], off, off offset:3204 ; 16-byte Folded Reload
	;; [unrolled: 1-line block ×8, first 2 shown]
	v_cndmask_b32_e64 v11, v11, v69, s[2:3]
	v_cndmask_b32_e64 v10, v10, v68, s[2:3]
	v_cndmask_b32_e64 v11, v11, v117, s[4:5]
	v_cndmask_b32_e64 v10, v10, v116, s[4:5]
	v_cndmask_b32_e64 v11, v11, v95, s[6:7]
	s_waitcnt vmcnt(4)
	v_mov_b32_e32 v93, v31
	scratch_load_dwordx4 v[18:21], off, off offset:3060 ; 16-byte Folded Reload
	scratch_load_dwordx4 v[22:25], off, off offset:3076 ; 16-byte Folded Reload
	scratch_load_dwordx4 v[26:29], off, off offset:3092 ; 16-byte Folded Reload
	scratch_load_dwordx4 v[30:33], off, off offset:3108 ; 16-byte Folded Reload
	scratch_load_dwordx4 v[34:37], off, off offset:3124 ; 16-byte Folded Reload
	scratch_load_dwordx4 v[38:41], off, off offset:3140 ; 16-byte Folded Reload
	scratch_load_dwordx4 v[42:45], off, off offset:3156 ; 16-byte Folded Reload
	scratch_load_dwordx4 v[46:49], off, off offset:3172 ; 16-byte Folded Reload
	v_cndmask_b32_e64 v11, v11, v93, s[8:9]
	s_waitcnt vmcnt(4)
	v_mov_b32_e32 v89, v33
	scratch_load_dwordx4 v[18:21], off, off offset:3828 ; 16-byte Folded Reload
	scratch_load_dwordx4 v[22:25], off, off offset:3844 ; 16-byte Folded Reload
	scratch_load_dwordx4 v[26:29], off, off offset:3860 ; 16-byte Folded Reload
	scratch_load_dwordx4 v[30:33], off, off offset:3876 ; 16-byte Folded Reload
	scratch_load_dwordx4 v[34:37], off, off offset:3892 ; 16-byte Folded Reload
	scratch_load_dwordx4 v[38:41], off, off offset:3908 ; 16-byte Folded Reload
	scratch_load_dwordx4 v[42:45], off, off offset:3924 ; 16-byte Folded Reload
	scratch_load_dwordx4 v[46:49], off, off offset:3940 ; 16-byte Folded Reload
	v_cndmask_b32_e64 v11, v11, v89, s[10:11]
	;; [unrolled: 11-line block ×7, first 2 shown]
	s_waitcnt vmcnt(5)
	v_mov_b64_e32 v[8:9], v[26:27]
	scratch_load_dwordx4 v[18:21], off, off offset:2292 ; 16-byte Folded Reload
	scratch_load_dwordx4 v[22:25], off, off offset:2308 ; 16-byte Folded Reload
	;; [unrolled: 1-line block ×8, first 2 shown]
	v_cndmask_b32_e64 v12, v12, v9, s[4:5]
	v_cndmask_b32_e64 v13, v13, v8, s[4:5]
	s_waitcnt vmcnt(5)
	v_mov_b32_e32 v83, v29
	scratch_load_dwordx4 v[18:21], off, off offset:2164 ; 16-byte Folded Reload
	scratch_load_dwordx4 v[22:25], off, off offset:2180 ; 16-byte Folded Reload
	scratch_load_dwordx4 v[26:29], off, off offset:2196 ; 16-byte Folded Reload
	scratch_load_dwordx4 v[30:33], off, off offset:2212 ; 16-byte Folded Reload
	scratch_load_dwordx4 v[34:37], off, off offset:2228 ; 16-byte Folded Reload
	scratch_load_dwordx4 v[38:41], off, off offset:2244 ; 16-byte Folded Reload
	scratch_load_dwordx4 v[42:45], off, off offset:2260 ; 16-byte Folded Reload
	scratch_load_dwordx4 v[46:49], off, off offset:2276 ; 16-byte Folded Reload
	v_cndmask_b32_e64 v12, v12, v83, s[6:7]
	s_waitcnt vmcnt(4)
	v_mov_b32_e32 v81, v31
	scratch_load_dwordx4 v[18:21], off, off offset:2036 ; 16-byte Folded Reload
	scratch_load_dwordx4 v[22:25], off, off offset:2052 ; 16-byte Folded Reload
	scratch_load_dwordx4 v[26:29], off, off offset:2068 ; 16-byte Folded Reload
	scratch_load_dwordx4 v[30:33], off, off offset:2084 ; 16-byte Folded Reload
	scratch_load_dwordx4 v[34:37], off, off offset:2100 ; 16-byte Folded Reload
	scratch_load_dwordx4 v[38:41], off, off offset:2116 ; 16-byte Folded Reload
	scratch_load_dwordx4 v[42:45], off, off offset:2132 ; 16-byte Folded Reload
	scratch_load_dwordx4 v[46:49], off, off offset:2148 ; 16-byte Folded Reload
	;; [unrolled: 11-line block ×8, first 2 shown]
	v_cndmask_b32_e64 v12, v14, v70, s[12:13]
	v_cndmask_b32_e32 v14, v161, v155, vcc
	v_cmp_eq_u32_e32 vcc, 1, v16
	v_cndmask_b32_e64 v14, v14, v111, s[0:1]
	v_cmp_eq_u32_e64 s[0:1], 2, v16
	v_cndmask_b32_e64 v14, v14, v129, s[2:3]
	v_cmp_eq_u32_e64 s[2:3], 3, v16
	;; [unrolled: 2-line block ×3, first 2 shown]
	s_waitcnt vmcnt(5)
	v_mov_b32_e32 v73, v45
	scratch_load_dwordx4 v[34:37], off, off offset:1012 ; 16-byte Folded Reload
	scratch_load_dwordx4 v[38:41], off, off offset:1028 ; 16-byte Folded Reload
	;; [unrolled: 1-line block ×8, first 2 shown]
	v_cndmask_b32_e64 v14, v14, v73, s[6:7]
	s_waitcnt vmcnt(4)
	v_mov_b32_e32 v71, v47
	scratch_load_dwordx4 v[36:39], off, off offset:884 ; 16-byte Folded Reload
	scratch_load_dwordx4 v[40:43], off, off offset:900 ; 16-byte Folded Reload
	;; [unrolled: 1-line block ×16, first 2 shown]
	v_cndmask_b32_e64 v14, v14, v71, s[8:9]
	s_waitcnt vmcnt(10)
	v_mov_b32_e32 v59, v51
	s_waitcnt vmcnt(5)
	v_mov_b32_e32 v62, v28
	scratch_load_dwordx4 v[18:21], off, off offset:1652 ; 16-byte Folded Reload
	scratch_load_dwordx4 v[22:25], off, off offset:1668 ; 16-byte Folded Reload
	;; [unrolled: 1-line block ×8, first 2 shown]
	v_cndmask_b32_e64 v15, v15, v62, s[6:7]
	v_cmp_eq_u32_e64 s[6:7], 5, v16
	v_cndmask_b32_e64 v14, v14, v59, s[10:11]
	s_waitcnt vmcnt(4)
	v_mov_b32_e32 v60, v30
	scratch_load_dwordx4 v[18:21], off, off offset:1524 ; 16-byte Folded Reload
	scratch_load_dwordx4 v[22:25], off, off offset:1540 ; 16-byte Folded Reload
	;; [unrolled: 1-line block ×8, first 2 shown]
	s_waitcnt vmcnt(7)
	v_cndmask_b32_e32 v18, v147, v109, vcc
	v_cndmask_b32_e32 v19, v146, v108, vcc
	v_cndmask_b32_e64 v18, v18, v107, s[0:1]
	v_cndmask_b32_e64 v19, v19, v106, s[0:1]
	;; [unrolled: 1-line block ×7, first 2 shown]
	v_cmp_eq_u32_e64 s[8:9], 6, v16
	v_cndmask_b32_e64 v18, v18, v95, s[6:7]
	v_cndmask_b32_e64 v19, v19, v84, s[6:7]
	v_cndmask_b32_e64 v18, v18, v93, s[8:9]
	v_cndmask_b32_e64 v19, v19, v82, s[8:9]
	s_waitcnt vmcnt(4)
	v_mov_b32_e32 v58, v32
	scratch_load_dwordx4 v[26:29], off, off offset:1268 ; 16-byte Folded Reload
	scratch_load_dwordx4 v[30:33], off, off offset:1284 ; 16-byte Folded Reload
	;; [unrolled: 1-line block ×8, first 2 shown]
	v_cndmask_b32_e64 v17, v15, v58, s[10:11]
	v_cmp_eq_u32_e64 s[10:11], 7, v16
	v_cndmask_b32_e64 v15, v14, v79, s[12:13]
	s_waitcnt vmcnt(3)
	v_cndmask_b32_e64 v14, v17, v42, s[12:13]
	v_cndmask_b32_e32 v17, v105, v115, vcc
	v_cmp_eq_u32_e64 s[12:13], 8, v16
	v_cndmask_b32_e32 v16, v104, v114, vcc
	v_cndmask_b32_e64 v18, v18, v89, s[10:11]
	v_cndmask_b32_e64 v19, v19, v80, s[10:11]
	;; [unrolled: 1-line block ×6, first 2 shown]
	v_cndmask_b32_e32 v18, v161, v155, vcc
	v_cndmask_b32_e32 v19, v160, v154, vcc
	v_cndmask_b32_e64 v17, v17, v91, s[2:3]
	v_cndmask_b32_e64 v16, v16, v90, s[2:3]
	;; [unrolled: 1-line block ×26, first 2 shown]
	v_add_f64 v[30:31], v[16:17], -v[12:13]
	v_add_f64 v[28:29], v[24:25], -v[10:11]
	v_mul_f64 v[18:19], v[10:11], v[14:15]
	v_mul_f64 v[20:21], v[12:13], v[14:15]
	;; [unrolled: 1-line block ×3, first 2 shown]
.LBB0_119:                              ; =>This Inner Loop Header: Depth=1
	v_cmp_eq_u32_e32 vcc, 1, v1
	v_cmp_eq_u32_e64 s[0:1], 2, v1
	v_cmp_eq_u32_e64 s[2:3], 3, v1
	v_cndmask_b32_e32 v34, v147, v109, vcc
	v_cndmask_b32_e32 v35, v146, v108, vcc
	v_cndmask_b32_e64 v34, v34, v107, s[0:1]
	v_cndmask_b32_e64 v35, v35, v106, s[0:1]
	;; [unrolled: 1-line block ×3, first 2 shown]
	v_cmp_eq_u32_e64 s[4:5], 4, v1
	v_cndmask_b32_e64 v35, v35, v68, s[2:3]
	v_cmp_eq_u32_e64 s[6:7], 5, v1
	v_cndmask_b32_e64 v34, v34, v117, s[4:5]
	v_cndmask_b32_e64 v35, v35, v116, s[4:5]
	;; [unrolled: 1-line block ×3, first 2 shown]
	v_cmp_eq_u32_e64 s[8:9], 6, v1
	v_cndmask_b32_e64 v35, v35, v84, s[6:7]
	v_cmp_eq_u32_e64 s[10:11], 7, v1
	v_cndmask_b32_e64 v34, v34, v93, s[8:9]
	v_cndmask_b32_e64 v35, v35, v82, s[8:9]
	;; [unrolled: 1-line block ×3, first 2 shown]
	v_cmp_eq_u32_e64 s[12:13], 8, v1
	v_cndmask_b32_e64 v36, v35, v80, s[10:11]
	v_cndmask_b32_e32 v37, v104, v114, vcc
	v_cndmask_b32_e64 v35, v34, v85, s[12:13]
	v_cndmask_b32_e64 v34, v36, v78, s[12:13]
	v_cndmask_b32_e32 v36, v105, v115, vcc
	v_cndmask_b32_e64 v36, v36, v113, s[0:1]
	v_cndmask_b32_e64 v37, v37, v112, s[0:1]
	v_cndmask_b32_e64 v36, v36, v91, s[2:3]
	v_cndmask_b32_e64 v37, v37, v90, s[2:3]
	v_cndmask_b32_e64 v36, v36, v9, s[4:5]
	v_cndmask_b32_e64 v37, v37, v8, s[4:5]
	v_cndmask_b32_e64 v36, v36, v83, s[6:7]
	v_cndmask_b32_e64 v37, v37, v76, s[6:7]
	v_cndmask_b32_e64 v36, v36, v81, s[8:9]
	v_cndmask_b32_e64 v37, v37, v74, s[8:9]
	v_cndmask_b32_e64 v36, v36, v77, s[10:11]
	v_cndmask_b32_e64 v38, v37, v72, s[10:11]
	v_cndmask_b32_e64 v37, v36, v75, s[12:13]
	v_cndmask_b32_e64 v36, v38, v70, s[12:13]
	v_add_f64 v[38:39], v[34:35], -v[10:11]
	v_mul_f64 v[30:31], v[38:39], v[30:31]
	v_add_f64 v[40:41], v[36:37], -v[12:13]
	v_fma_f64 v[28:29], v[40:41], v[28:29], -v[30:31]
	v_cndmask_b32_e32 v30, v161, v155, vcc
	v_cndmask_b32_e32 v31, v160, v154, vcc
	v_cndmask_b32_e64 v30, v30, v111, s[0:1]
	v_cndmask_b32_e64 v31, v31, v110, s[0:1]
	v_cndmask_b32_e64 v30, v30, v129, s[2:3]
	v_cndmask_b32_e64 v31, v31, v128, s[2:3]
	v_cndmask_b32_e64 v30, v30, v87, s[4:5]
	v_cndmask_b32_e64 v31, v31, v86, s[4:5]
	v_cndmask_b32_e64 v30, v30, v73, s[6:7]
	v_cndmask_b32_e64 v31, v31, v62, s[6:7]
	v_cndmask_b32_e64 v30, v30, v71, s[8:9]
	v_cndmask_b32_e64 v31, v31, v60, s[8:9]
	v_cndmask_b32_e64 v30, v30, v59, s[10:11]
	v_cndmask_b32_e64 v31, v31, v58, s[10:11]
	v_cndmask_b32_e64 v45, v30, v79, s[12:13]
	v_cndmask_b32_e64 v44, v31, v42, s[12:13]
	s_waitcnt vmcnt(2)
	v_fma_f64 v[46:47], v[26:27], v[26:27], v[22:23]
	v_fmac_f64_e32 v[46:47], v[44:45], v[44:45]
	v_fmac_f64_e32 v[46:47], v[14:15], v[26:27]
	;; [unrolled: 1-line block ×3, first 2 shown]
	v_add_f64 v[48:49], v[14:15], v[26:27]
	v_add_f64 v[30:31], v[10:11], v[24:25]
	v_fma_f64 v[24:25], v[24:25], v[26:27], v[18:19]
	v_fmac_f64_e32 v[46:47], v[44:45], v[26:27]
	v_fma_f64 v[26:27], v[16:17], v[26:27], v[20:21]
	v_add_f64 v[16:17], v[12:13], v[16:17]
	v_add_f64 v[48:49], v[44:45], v[48:49]
	;; [unrolled: 1-line block ×3, first 2 shown]
	v_fmac_f64_e32 v[150:151], v[48:49], v[28:29]
	v_mul_f64 v[48:49], v[48:49], v[28:29]
	v_mul_f64 v[16:17], v[16:17], v[48:49]
	v_fmac_f64_e32 v[26:27], v[36:37], v[44:45]
	v_fmac_f64_e32 v[16:17], v[26:27], v[28:29]
	v_add_f64 v[144:145], v[144:145], v[16:17]
	v_lshl_add_u32 v16, v1, 2, v0
	scratch_load_dword v1, v16, off
	v_add_f64 v[30:31], v[30:31], v[34:35]
	v_mul_f64 v[30:31], v[30:31], v[48:49]
	v_fmac_f64_e32 v[24:25], v[44:45], v[34:35]
	v_fmac_f64_e32 v[30:31], v[24:25], v[28:29]
	;; [unrolled: 1-line block ×3, first 2 shown]
	v_add_f64 v[142:143], v[142:143], v[30:31]
	v_mov_b64_e32 v[24:25], v[34:35]
	v_mov_b64_e32 v[16:17], v[36:37]
	;; [unrolled: 1-line block ×5, first 2 shown]
	s_waitcnt vmcnt(0)
	v_cmp_gt_i32_e32 vcc, 0, v1
	s_or_b64 s[18:19], vcc, s[18:19]
	s_andn2_b64 exec, exec, s[18:19]
	s_cbranch_execnz .LBB0_119
; %bb.120:
	s_or_b64 exec, exec, s[18:19]
.LBB0_121:
	s_or_b64 exec, exec, s[16:17]
.LBB0_122:
	s_or_b64 exec, exec, s[14:15]
	s_mov_b32 s1, 0x3fc55555
	s_mov_b32 s0, 0x55555555
	v_mul_f64 v[0:1], v[150:151], s[0:1]
	s_mov_b32 s1, 0x3fa55555
	v_mul_f64 v[2:3], v[142:143], s[0:1]
	v_mul_f64 v[4:5], v[144:145], s[0:1]
	;; [unrolled: 1-line block ×3, first 2 shown]
	s_movk_i32 s0, 0x129c
	scratch_load_dwordx2 v[8:9], off, s0    ; 8-byte Folded Reload
	s_movk_i32 s0, 0x1254
	scratch_load_dwordx2 v[10:11], off, s0  ; 8-byte Folded Reload
	s_movk_i32 s0, 0x12a4
	s_waitcnt vmcnt(1)
	v_mul_f64 v[8:9], v[8:9], v[2:3]
	s_waitcnt vmcnt(0)
	v_fmac_f64_e32 v[8:9], v[10:11], v[0:1]
	scratch_load_dwordx2 v[10:11], off, s0  ; 8-byte Folded Reload
	s_movk_i32 s0, 0x128c
	s_waitcnt vmcnt(0)
	v_fmac_f64_e32 v[8:9], v[10:11], v[4:5]
	scratch_load_dwordx2 v[10:11], off, s0  ; 8-byte Folded Reload
	s_movk_i32 s0, 0x127c
	scratch_load_dwordx2 v[14:15], off, s0  ; 8-byte Folded Reload
	s_movk_i32 s0, 0x1284
	s_waitcnt vmcnt(1)
	v_fmac_f64_e32 v[8:9], v[10:11], v[6:7]
	s_waitcnt vmcnt(0)
	v_mul_f64 v[8:9], v[14:15], v[8:9]
	v_add_f64 v[16:17], v[8:9], 0
	scratch_load_dwordx2 v[8:9], off, s0    ; 8-byte Folded Reload
	s_movk_i32 s0, 0x1244
	scratch_load_dwordx4 v[10:13], off, s0  ; 16-byte Folded Reload
	s_movk_i32 s0, 0x1294
	scratch_load_dwordx2 v[10:11], off, s0  ; 8-byte Folded Reload
	s_movk_i32 s0, 0x1264
	s_waitcnt vmcnt(2)
	v_mul_f64 v[8:9], v[8:9], v[2:3]
	s_waitcnt vmcnt(1)
	v_fmac_f64_e32 v[8:9], v[12:13], v[0:1]
	s_waitcnt vmcnt(0)
	v_fmac_f64_e32 v[8:9], v[10:11], v[4:5]
	scratch_load_dwordx2 v[10:11], off, s0  ; 8-byte Folded Reload
	s_movk_i32 s0, 0x126c
	s_waitcnt vmcnt(0)
	v_fmac_f64_e32 v[8:9], v[10:11], v[6:7]
	v_mul_f64 v[8:9], v[14:15], v[8:9]
	v_add_f64 v[18:19], v[8:9], 0
	scratch_load_dwordx2 v[8:9], off, s0    ; 8-byte Folded Reload
	s_movk_i32 s0, 0x1234
	s_waitcnt vmcnt(0)
	v_mul_f64 v[2:3], v[8:9], v[2:3]
	scratch_load_dwordx4 v[8:11], off, s0   ; 16-byte Folded Reload
	s_movk_i32 s0, 0x1274
	scratch_load_dwordx2 v[8:9], off, s0    ; 8-byte Folded Reload
	s_movk_i32 s0, 0x125c
	s_waitcnt vmcnt(1)
	v_fmac_f64_e32 v[2:3], v[10:11], v[0:1]
	v_mul_f64 v[0:1], v[14:15], v[0:1]
	s_waitcnt vmcnt(0)
	v_fmac_f64_e32 v[2:3], v[8:9], v[4:5]
	scratch_load_dwordx2 v[4:5], off, s0    ; 8-byte Folded Reload
	s_movk_i32 s0, 0x1224
	scratch_load_dwordx2 v[46:47], off, s0  ; 8-byte Folded Reload
	s_movk_i32 s0, 0x122c
	scratch_load_dwordx2 v[24:25], off, s0  ; 8-byte Folded Reload
	v_add_f64 v[22:23], v[0:1], 0
	s_waitcnt vmcnt(2)
	v_fmac_f64_e32 v[2:3], v[4:5], v[6:7]
	v_mul_f64 v[2:3], v[14:15], v[2:3]
	v_add_f64 v[20:21], v[2:3], 0
.LBB0_123:
	s_or_b64 exec, exec, s[48:49]
	s_movk_i32 s2, 0x48
	s_waitcnt vmcnt(0)
	v_mad_u64_u32 v[0:1], s[0:1], v24, s2, 0
	v_mov_b32_e32 v2, v1
	v_mad_u64_u32 v[2:3], s[0:1], v25, s2, v[2:3]
	v_mov_b32_e32 v1, v2
	v_mov_b64_e32 v[2:3], 0
	v_cmp_lt_u64_e32 vcc, s[52:53], v[0:1]
	v_mov_b64_e32 v[0:1], v[22:23]
	v_mov_b64_e32 v[4:5], v[16:17]
	;; [unrolled: 1-line block ×7, first 2 shown]
	s_and_saveexec_b64 s[0:1], vcc
; %bb.124:
	v_mov_b64_e32 v[0:1], 0
	v_mov_b64_e32 v[4:5], v[0:1]
	;; [unrolled: 1-line block ×8, first 2 shown]
; %bb.125:
	s_or_b64 exec, exec, s[0:1]
	v_mbcnt_lo_u32_b32 v16, -1, 0
	v_mbcnt_hi_u32_b32 v16, -1, v16
	v_and_b32_e32 v17, 64, v16
	v_add_u32_e32 v17, 64, v17
	s_mov_b64 s[0:1], 1
	s_waitcnt lgkmcnt(0)
	; wave barrier
.LBB0_126:                              ; =>This Inner Loop Header: Depth=1
	v_xor_b32_e32 v18, s0, v16
	v_cmp_lt_i32_e32 vcc, v18, v17
	s_lshl_b64 s[2:3], s[0:1], 1
	v_cmp_gt_u64_e64 s[0:1], s[0:1], 31
	v_cndmask_b32_e32 v18, v16, v18, vcc
	v_lshlrev_b32_e32 v33, 2, v18
	ds_bpermute_b32 v18, v33, v14
	ds_bpermute_b32 v19, v33, v15
	;; [unrolled: 1-line block ×16, first 2 shown]
	s_and_b64 vcc, exec, s[0:1]
	s_mov_b64 s[0:1], s[2:3]
	s_waitcnt lgkmcnt(14)
	v_add_f64 v[14:15], v[14:15], v[18:19]
	s_waitcnt lgkmcnt(12)
	v_add_f64 v[12:13], v[12:13], v[20:21]
	;; [unrolled: 2-line block ×8, first 2 shown]
	s_cbranch_vccz .LBB0_126
; %bb.127:
	v_and_b32_e32 v16, 63, v46
	v_cmp_eq_u32_e32 vcc, 0, v16
	s_and_saveexec_b64 s[0:1], vcc
	s_cbranch_execz .LBB0_129
; %bb.128:
	v_lshrrev_b32_e32 v16, 3, v46
	ds_write2_b64 v16, v[0:1], v[4:5] offset1:2
	ds_write2_b64 v16, v[6:7], v[8:9] offset0:4 offset1:6
	ds_write2_b64 v16, v[14:15], v[12:13] offset0:8 offset1:10
	;; [unrolled: 1-line block ×3, first 2 shown]
.LBB0_129:
	s_or_b64 exec, exec, s[0:1]
	v_cmp_gt_u32_e32 vcc, 8, v46
	s_waitcnt lgkmcnt(0)
	; wave barrier
	s_waitcnt lgkmcnt(0)
	s_and_saveexec_b64 s[0:1], vcc
	s_cbranch_execz .LBB0_131
; %bb.130:
	v_lshlrev_b32_e32 v0, 4, v46
	ds_read_b64 v[0:1], v0
	s_add_u32 s0, s50, s52
	s_addc_u32 s1, s51, s53
	v_lshl_add_u64 v[2:3], v[46:47], 3, s[0:1]
	s_waitcnt lgkmcnt(0)
	global_store_dwordx2 v[2:3], v[0:1], off
.LBB0_131:
	s_endpgm
	.section	.rodata,"a",@progbits
	.p2align	6, 0x0
	.amdhsa_kernel _ZN8rajaperf4apps16intsc_hexhex_hipILm64EEEvPdS2_mS2_
		.amdhsa_group_segment_fixed_size 128
		.amdhsa_private_segment_fixed_size 4816
		.amdhsa_kernarg_size 32
		.amdhsa_user_sgpr_count 2
		.amdhsa_user_sgpr_dispatch_ptr 0
		.amdhsa_user_sgpr_queue_ptr 0
		.amdhsa_user_sgpr_kernarg_segment_ptr 1
		.amdhsa_user_sgpr_dispatch_id 0
		.amdhsa_user_sgpr_kernarg_preload_length 0
		.amdhsa_user_sgpr_kernarg_preload_offset 0
		.amdhsa_user_sgpr_private_segment_size 0
		.amdhsa_uses_dynamic_stack 0
		.amdhsa_enable_private_segment 1
		.amdhsa_system_sgpr_workgroup_id_x 1
		.amdhsa_system_sgpr_workgroup_id_y 0
		.amdhsa_system_sgpr_workgroup_id_z 0
		.amdhsa_system_sgpr_workgroup_info 0
		.amdhsa_system_vgpr_workitem_id 0
		.amdhsa_next_free_vgpr 168
		.amdhsa_next_free_sgpr 56
		.amdhsa_accum_offset 168
		.amdhsa_reserve_vcc 1
		.amdhsa_float_round_mode_32 0
		.amdhsa_float_round_mode_16_64 0
		.amdhsa_float_denorm_mode_32 3
		.amdhsa_float_denorm_mode_16_64 3
		.amdhsa_dx10_clamp 1
		.amdhsa_ieee_mode 1
		.amdhsa_fp16_overflow 0
		.amdhsa_tg_split 0
		.amdhsa_exception_fp_ieee_invalid_op 0
		.amdhsa_exception_fp_denorm_src 0
		.amdhsa_exception_fp_ieee_div_zero 0
		.amdhsa_exception_fp_ieee_overflow 0
		.amdhsa_exception_fp_ieee_underflow 0
		.amdhsa_exception_fp_ieee_inexact 0
		.amdhsa_exception_int_div_zero 0
	.end_amdhsa_kernel
	.section	.text._ZN8rajaperf4apps16intsc_hexhex_hipILm64EEEvPdS2_mS2_,"axG",@progbits,_ZN8rajaperf4apps16intsc_hexhex_hipILm64EEEvPdS2_mS2_,comdat
.Lfunc_end0:
	.size	_ZN8rajaperf4apps16intsc_hexhex_hipILm64EEEvPdS2_mS2_, .Lfunc_end0-_ZN8rajaperf4apps16intsc_hexhex_hipILm64EEEvPdS2_mS2_
                                        ; -- End function
	.section	.AMDGPU.csdata,"",@progbits
; Kernel info:
; codeLenInByte = 74784
; NumSgprs: 62
; NumVgprs: 168
; NumAgprs: 0
; TotalNumVgprs: 168
; ScratchSize: 4816
; MemoryBound: 0
; FloatMode: 240
; IeeeMode: 1
; LDSByteSize: 128 bytes/workgroup (compile time only)
; SGPRBlocks: 7
; VGPRBlocks: 20
; NumSGPRsForWavesPerEU: 62
; NumVGPRsForWavesPerEU: 168
; AccumOffset: 168
; Occupancy: 3
; WaveLimiterHint : 0
; COMPUTE_PGM_RSRC2:SCRATCH_EN: 1
; COMPUTE_PGM_RSRC2:USER_SGPR: 2
; COMPUTE_PGM_RSRC2:TRAP_HANDLER: 0
; COMPUTE_PGM_RSRC2:TGID_X_EN: 1
; COMPUTE_PGM_RSRC2:TGID_Y_EN: 0
; COMPUTE_PGM_RSRC2:TGID_Z_EN: 0
; COMPUTE_PGM_RSRC2:TIDIG_COMP_CNT: 0
; COMPUTE_PGM_RSRC3_GFX90A:ACCUM_OFFSET: 41
; COMPUTE_PGM_RSRC3_GFX90A:TG_SPLIT: 0
	.section	.text._ZN8rajaperf4apps32intsc_hexhex_hip_fixup_vv_64to72ILm64EEEvPdmS2_,"axG",@progbits,_ZN8rajaperf4apps32intsc_hexhex_hip_fixup_vv_64to72ILm64EEEvPdmS2_,comdat
	.protected	_ZN8rajaperf4apps32intsc_hexhex_hip_fixup_vv_64to72ILm64EEEvPdmS2_ ; -- Begin function _ZN8rajaperf4apps32intsc_hexhex_hip_fixup_vv_64to72ILm64EEEvPdmS2_
	.globl	_ZN8rajaperf4apps32intsc_hexhex_hip_fixup_vv_64to72ILm64EEEvPdmS2_
	.p2align	8
	.type	_ZN8rajaperf4apps32intsc_hexhex_hip_fixup_vv_64to72ILm64EEEvPdmS2_,@function
_ZN8rajaperf4apps32intsc_hexhex_hip_fixup_vv_64to72ILm64EEEvPdmS2_: ; @_ZN8rajaperf4apps32intsc_hexhex_hip_fixup_vv_64to72ILm64EEEvPdmS2_
; %bb.0:
	s_load_dwordx4 s[4:7], s[0:1], 0x0
	s_load_dwordx2 s[8:9], s[0:1], 0x10
	v_lshl_add_u32 v4, s2, 6, v0
	v_ashrrev_i32_e32 v5, 31, v4
	s_movk_i32 s0, 0x240
	s_waitcnt lgkmcnt(0)
	v_mov_b32_e32 v2, s4
	v_mov_b32_e32 v3, s5
	v_lshlrev_b64 v[0:1], 8, v[4:5]
	v_mad_i64_i32 v[2:3], s[0:1], v4, s0, v[2:3]
	v_lshlrev_b64 v[4:5], 3, v[4:5]
	v_lshl_add_u64 v[0:1], s[8:9], 0, v[0:1]
	v_cmp_gt_u64_e32 vcc, s[6:7], v[4:5]
	s_and_saveexec_b64 s[0:1], vcc
	s_cbranch_execz .LBB1_2
; %bb.1:
	global_load_dwordx2 v[6:7], v[2:3], off
	global_load_dwordx2 v[8:9], v[2:3], off offset:64
	s_waitcnt vmcnt(0)
	v_add_f64 v[6:7], v[6:7], v[8:9]
	global_store_dwordx2 v[0:1], v[6:7], off
	global_load_dwordx2 v[6:7], v[2:3], off offset:8
	s_nop 0
	global_load_dwordx2 v[8:9], v[2:3], off offset:72
	s_waitcnt vmcnt(0)
	v_add_f64 v[6:7], v[6:7], v[8:9]
	global_store_dwordx2 v[0:1], v[6:7], off offset:8
	global_load_dwordx2 v[6:7], v[2:3], off offset:16
	s_nop 0
	global_load_dwordx2 v[8:9], v[2:3], off offset:80
	s_waitcnt vmcnt(0)
	v_add_f64 v[6:7], v[6:7], v[8:9]
	global_store_dwordx2 v[0:1], v[6:7], off offset:16
	global_load_dwordx2 v[6:7], v[2:3], off offset:24
	s_nop 0
	global_load_dwordx2 v[8:9], v[2:3], off offset:88
	s_waitcnt vmcnt(0)
	v_add_f64 v[6:7], v[6:7], v[8:9]
	global_store_dwordx2 v[0:1], v[6:7], off offset:24
.LBB1_2:
	s_or_b64 exec, exec, s[0:1]
	v_or_b32_e32 v6, 1, v4
	v_mov_b32_e32 v7, v5
	v_cmp_gt_u64_e32 vcc, s[6:7], v[6:7]
	s_and_saveexec_b64 s[0:1], vcc
	s_cbranch_execz .LBB1_4
; %bb.3:
	global_load_dwordx2 v[6:7], v[2:3], off offset:96
	global_load_dwordx2 v[8:9], v[2:3], off offset:128
	s_waitcnt vmcnt(0)
	v_add_f64 v[6:7], v[6:7], v[8:9]
	global_store_dwordx2 v[0:1], v[6:7], off offset:32
	global_load_dwordx2 v[6:7], v[2:3], off offset:104
	s_nop 0
	global_load_dwordx2 v[8:9], v[2:3], off offset:136
	s_waitcnt vmcnt(0)
	v_add_f64 v[6:7], v[6:7], v[8:9]
	global_store_dwordx2 v[0:1], v[6:7], off offset:40
	global_load_dwordx2 v[6:7], v[2:3], off offset:112
	s_nop 0
	global_load_dwordx2 v[8:9], v[2:3], off offset:144
	s_waitcnt vmcnt(0)
	v_add_f64 v[6:7], v[6:7], v[8:9]
	global_store_dwordx2 v[0:1], v[6:7], off offset:48
	global_load_dwordx2 v[6:7], v[2:3], off offset:120
	s_nop 0
	global_load_dwordx2 v[8:9], v[2:3], off offset:152
	s_waitcnt vmcnt(0)
	v_add_f64 v[6:7], v[6:7], v[8:9]
	global_store_dwordx2 v[0:1], v[6:7], off offset:56
.LBB1_4:
	s_or_b64 exec, exec, s[0:1]
	v_or_b32_e32 v6, 2, v4
	v_mov_b32_e32 v7, v5
	v_cmp_gt_u64_e32 vcc, s[6:7], v[6:7]
	s_and_saveexec_b64 s[0:1], vcc
	s_cbranch_execz .LBB1_6
; %bb.5:
	global_load_dwordx2 v[6:7], v[2:3], off offset:160
	global_load_dwordx2 v[8:9], v[2:3], off offset:192
	s_waitcnt vmcnt(0)
	v_add_f64 v[6:7], v[6:7], v[8:9]
	global_store_dwordx2 v[0:1], v[6:7], off offset:64
	global_load_dwordx2 v[6:7], v[2:3], off offset:168
	s_nop 0
	global_load_dwordx2 v[8:9], v[2:3], off offset:200
	s_waitcnt vmcnt(0)
	v_add_f64 v[6:7], v[6:7], v[8:9]
	global_store_dwordx2 v[0:1], v[6:7], off offset:72
	global_load_dwordx2 v[6:7], v[2:3], off offset:176
	s_nop 0
	global_load_dwordx2 v[8:9], v[2:3], off offset:208
	s_waitcnt vmcnt(0)
	v_add_f64 v[6:7], v[6:7], v[8:9]
	global_store_dwordx2 v[0:1], v[6:7], off offset:80
	global_load_dwordx2 v[6:7], v[2:3], off offset:184
	s_nop 0
	global_load_dwordx2 v[8:9], v[2:3], off offset:216
	s_waitcnt vmcnt(0)
	v_add_f64 v[6:7], v[6:7], v[8:9]
	global_store_dwordx2 v[0:1], v[6:7], off offset:88
.LBB1_6:
	;; [unrolled: 31-line block ×6, first 2 shown]
	s_or_b64 exec, exec, s[0:1]
	v_or_b32_e32 v4, 7, v4
	v_cmp_gt_u64_e32 vcc, s[6:7], v[4:5]
	s_and_saveexec_b64 s[0:1], vcc
	s_cbranch_execz .LBB1_16
; %bb.15:
	global_load_dwordx2 v[4:5], v[2:3], off offset:480
	global_load_dwordx2 v[6:7], v[2:3], off offset:512
	s_waitcnt vmcnt(0)
	v_add_f64 v[4:5], v[4:5], v[6:7]
	global_store_dwordx2 v[0:1], v[4:5], off offset:224
	global_load_dwordx2 v[4:5], v[2:3], off offset:488
	s_nop 0
	global_load_dwordx2 v[6:7], v[2:3], off offset:520
	s_waitcnt vmcnt(0)
	v_add_f64 v[4:5], v[4:5], v[6:7]
	global_store_dwordx2 v[0:1], v[4:5], off offset:232
	global_load_dwordx2 v[4:5], v[2:3], off offset:496
	s_nop 0
	;; [unrolled: 6-line block ×3, first 2 shown]
	global_load_dwordx2 v[6:7], v[2:3], off offset:536
	s_waitcnt vmcnt(0)
	v_add_f64 v[2:3], v[4:5], v[6:7]
	global_store_dwordx2 v[0:1], v[2:3], off offset:248
.LBB1_16:
	s_endpgm
	.section	.rodata,"a",@progbits
	.p2align	6, 0x0
	.amdhsa_kernel _ZN8rajaperf4apps32intsc_hexhex_hip_fixup_vv_64to72ILm64EEEvPdmS2_
		.amdhsa_group_segment_fixed_size 0
		.amdhsa_private_segment_fixed_size 0
		.amdhsa_kernarg_size 24
		.amdhsa_user_sgpr_count 2
		.amdhsa_user_sgpr_dispatch_ptr 0
		.amdhsa_user_sgpr_queue_ptr 0
		.amdhsa_user_sgpr_kernarg_segment_ptr 1
		.amdhsa_user_sgpr_dispatch_id 0
		.amdhsa_user_sgpr_kernarg_preload_length 0
		.amdhsa_user_sgpr_kernarg_preload_offset 0
		.amdhsa_user_sgpr_private_segment_size 0
		.amdhsa_uses_dynamic_stack 0
		.amdhsa_enable_private_segment 0
		.amdhsa_system_sgpr_workgroup_id_x 1
		.amdhsa_system_sgpr_workgroup_id_y 0
		.amdhsa_system_sgpr_workgroup_id_z 0
		.amdhsa_system_sgpr_workgroup_info 0
		.amdhsa_system_vgpr_workitem_id 0
		.amdhsa_next_free_vgpr 10
		.amdhsa_next_free_sgpr 10
		.amdhsa_accum_offset 12
		.amdhsa_reserve_vcc 1
		.amdhsa_float_round_mode_32 0
		.amdhsa_float_round_mode_16_64 0
		.amdhsa_float_denorm_mode_32 3
		.amdhsa_float_denorm_mode_16_64 3
		.amdhsa_dx10_clamp 1
		.amdhsa_ieee_mode 1
		.amdhsa_fp16_overflow 0
		.amdhsa_tg_split 0
		.amdhsa_exception_fp_ieee_invalid_op 0
		.amdhsa_exception_fp_denorm_src 0
		.amdhsa_exception_fp_ieee_div_zero 0
		.amdhsa_exception_fp_ieee_overflow 0
		.amdhsa_exception_fp_ieee_underflow 0
		.amdhsa_exception_fp_ieee_inexact 0
		.amdhsa_exception_int_div_zero 0
	.end_amdhsa_kernel
	.section	.text._ZN8rajaperf4apps32intsc_hexhex_hip_fixup_vv_64to72ILm64EEEvPdmS2_,"axG",@progbits,_ZN8rajaperf4apps32intsc_hexhex_hip_fixup_vv_64to72ILm64EEEvPdmS2_,comdat
.Lfunc_end1:
	.size	_ZN8rajaperf4apps32intsc_hexhex_hip_fixup_vv_64to72ILm64EEEvPdmS2_, .Lfunc_end1-_ZN8rajaperf4apps32intsc_hexhex_hip_fixup_vv_64to72ILm64EEEvPdmS2_
                                        ; -- End function
	.section	.AMDGPU.csdata,"",@progbits
; Kernel info:
; codeLenInByte = 1504
; NumSgprs: 16
; NumVgprs: 10
; NumAgprs: 0
; TotalNumVgprs: 10
; ScratchSize: 0
; MemoryBound: 1
; FloatMode: 240
; IeeeMode: 1
; LDSByteSize: 0 bytes/workgroup (compile time only)
; SGPRBlocks: 1
; VGPRBlocks: 1
; NumSGPRsForWavesPerEU: 16
; NumVGPRsForWavesPerEU: 10
; AccumOffset: 12
; Occupancy: 8
; WaveLimiterHint : 1
; COMPUTE_PGM_RSRC2:SCRATCH_EN: 0
; COMPUTE_PGM_RSRC2:USER_SGPR: 2
; COMPUTE_PGM_RSRC2:TRAP_HANDLER: 0
; COMPUTE_PGM_RSRC2:TGID_X_EN: 1
; COMPUTE_PGM_RSRC2:TGID_Y_EN: 0
; COMPUTE_PGM_RSRC2:TGID_Z_EN: 0
; COMPUTE_PGM_RSRC2:TIDIG_COMP_CNT: 0
; COMPUTE_PGM_RSRC3_GFX90A:ACCUM_OFFSET: 2
; COMPUTE_PGM_RSRC3_GFX90A:TG_SPLIT: 0
	.section	.text._ZN8rajaperf17lambda_hip_forallILm64EZNS_4apps12INTSC_HEXHEX17runHipVariantImplILm64EEEvNS_9VariantIDEEUllE_EEvllT0_,"axG",@progbits,_ZN8rajaperf17lambda_hip_forallILm64EZNS_4apps12INTSC_HEXHEX17runHipVariantImplILm64EEEvNS_9VariantIDEEUllE_EEvllT0_,comdat
	.protected	_ZN8rajaperf17lambda_hip_forallILm64EZNS_4apps12INTSC_HEXHEX17runHipVariantImplILm64EEEvNS_9VariantIDEEUllE_EEvllT0_ ; -- Begin function _ZN8rajaperf17lambda_hip_forallILm64EZNS_4apps12INTSC_HEXHEX17runHipVariantImplILm64EEEvNS_9VariantIDEEUllE_EEvllT0_
	.globl	_ZN8rajaperf17lambda_hip_forallILm64EZNS_4apps12INTSC_HEXHEX17runHipVariantImplILm64EEEvNS_9VariantIDEEUllE_EEvllT0_
	.p2align	8
	.type	_ZN8rajaperf17lambda_hip_forallILm64EZNS_4apps12INTSC_HEXHEX17runHipVariantImplILm64EEEvNS_9VariantIDEEUllE_EEvllT0_,@function
_ZN8rajaperf17lambda_hip_forallILm64EZNS_4apps12INTSC_HEXHEX17runHipVariantImplILm64EEEvNS_9VariantIDEEUllE_EEvllT0_: ; @_ZN8rajaperf17lambda_hip_forallILm64EZNS_4apps12INTSC_HEXHEX17runHipVariantImplILm64EEEvNS_9VariantIDEEUllE_EEvllT0_
; %bb.0:
	s_load_dwordx4 s[4:7], s[0:1], 0x0
	s_mov_b32 s3, 0
	v_mov_b32_e32 v1, 0
	s_lshl_b64 s[2:3], s[2:3], 6
	s_waitcnt lgkmcnt(0)
	v_lshl_add_u64 v[2:3], v[0:1], 0, s[4:5]
	v_lshl_add_u64 v[34:35], v[2:3], 0, s[2:3]
	v_cmp_gt_i64_e32 vcc, s[6:7], v[34:35]
	s_and_saveexec_b64 s[2:3], vcc
	s_cbranch_execz .LBB2_136
; %bb.1:
	s_add_u32 s2, 0, 0x8e389f80
	s_addc_u32 s3, 0, 15
	s_add_i32 s3, s3, 0x38e38d4
	s_mul_hi_u32 s7, s2, 0xffffffb8
	s_mul_i32 s8, s3, 0xffffffb8
	s_add_i32 s7, s7, s8
	s_mul_i32 s4, s2, 0xffffffb8
	s_sub_i32 s7, s7, s2
	s_mul_hi_u32 s5, s3, s4
	s_mul_i32 s6, s3, s4
	s_mul_i32 s9, s2, s7
	s_mul_hi_u32 s4, s2, s4
	s_mul_hi_u32 s8, s2, s7
	s_add_u32 s4, s4, s9
	s_addc_u32 s8, 0, s8
	s_add_u32 s4, s4, s6
	s_mul_hi_u32 s9, s3, s7
	s_addc_u32 s4, s8, s5
	s_addc_u32 s5, s9, 0
	s_mul_i32 s6, s3, s7
	s_add_u32 s4, s4, s6
	v_mov_b32_e32 v0, s4
	v_ashrrev_i32_e32 v4, 31, v35
	s_addc_u32 s5, 0, s5
	v_add_co_u32_e32 v10, vcc, s2, v0
	v_mov_b32_e32 v5, v4
	s_cmp_lg_u64 vcc, 0
	v_lshl_add_u64 v[6:7], v[34:35], 0, v[4:5]
	scratch_store_dwordx2 off, v[2:3], off offset:2276 ; 8-byte Folded Spill
	s_addc_u32 s4, s3, s5
	v_xor_b32_e32 v3, v6, v4
	v_xor_b32_e32 v2, v7, v4
	v_mad_u64_u32 v[6:7], s[2:3], v3, s4, 0
	v_mul_hi_u32 v0, v3, v10
	v_lshl_add_u64 v[6:7], v[0:1], 0, v[6:7]
	v_mad_u64_u32 v[10:11], s[2:3], v2, v10, 0
	v_add_co_u32_e32 v0, vcc, v6, v10
	v_mad_u64_u32 v[8:9], s[2:3], v2, s4, 0
	s_nop 0
	v_addc_co_u32_e32 v0, vcc, v7, v11, vcc
	s_movk_i32 s4, 0x48
	s_nop 0
	v_addc_co_u32_e32 v9, vcc, 0, v9, vcc
	v_lshl_add_u64 v[0:1], v[0:1], 0, v[8:9]
	v_mad_u64_u32 v[6:7], s[2:3], v0, s4, 0
	v_mov_b32_e32 v8, v7
	v_mad_u64_u32 v[8:9], s[2:3], v1, s4, v[8:9]
	v_sub_co_u32_e32 v5, vcc, v3, v6
	s_movk_i32 s2, 0x47
	s_nop 0
	v_subb_co_u32_e32 v10, vcc, v2, v8, vcc
	v_subrev_co_u32_e32 v6, vcc, 0x48, v5
	v_lshl_add_u64 v[8:9], v[0:1], 0, 1
	s_nop 0
	v_subbrev_co_u32_e32 v7, vcc, 0, v10, vcc
	v_cmp_lt_u32_e32 vcc, s2, v6
	v_cmp_lt_u32_e64 s[2:3], s2, v5
	s_load_dwordx4 s[48:51], s[0:1], 0x10
	v_cndmask_b32_e64 v6, 0, -1, vcc
	v_cmp_eq_u32_e32 vcc, 0, v7
	v_cndmask_b32_e64 v5, 0, -1, s[2:3]
	v_cmp_eq_u32_e64 s[2:3], 0, v10
	v_cndmask_b32_e32 v11, -1, v6, vcc
	v_lshl_add_u64 v[6:7], v[0:1], 0, 2
	v_cmp_ne_u32_e32 vcc, 0, v11
	v_cndmask_b32_e64 v5, -1, v5, s[2:3]
	v_cmp_ne_u32_e64 s[2:3], 0, v5
	v_cndmask_b32_e32 v5, v8, v6, vcc
	v_cndmask_b32_e32 v7, v9, v7, vcc
	v_cndmask_b32_e64 v0, v0, v5, s[2:3]
	v_cndmask_b32_e64 v1, v1, v7, s[2:3]
	v_xor_b32_e32 v0, v0, v4
	v_xor_b32_e32 v1, v1, v4
	v_sub_co_u32_e32 v14, vcc, v0, v4
	v_mov_b64_e32 v[20:21], 0
	s_nop 0
	v_subb_co_u32_e32 v15, vcc, v1, v4, vcc
	s_waitcnt lgkmcnt(0)
	v_cmp_gt_u64_e32 vcc, s[50:51], v[14:15]
	v_mov_b64_e32 v[18:19], v[20:21]
	v_mov_b64_e32 v[16:17], v[20:21]
	;; [unrolled: 1-line block ×3, first 2 shown]
	s_and_saveexec_b64 s[50:51], vcc
	s_cbranch_execz .LBB2_128
; %bb.2:
	s_mov_b32 s4, 0xaaaaaaaa
	s_mov_b32 s5, 0x2aaaaaaa
	v_mad_u64_u32 v[6:7], s[2:3], v3, s5, 0
	v_mul_hi_u32 v8, v3, s4
	v_mov_b32_e32 v9, 0
	v_mad_u64_u32 v[0:1], s[2:3], v2, s4, 0
	v_lshl_add_u64 v[6:7], v[8:9], 0, v[6:7]
	v_add_co_u32_e32 v0, vcc, v6, v0
	v_mad_u64_u32 v[10:11], s[2:3], v2, s5, 0
	s_nop 0
	v_addc_co_u32_e32 v8, vcc, v7, v1, vcc
	s_nop 1
	v_addc_co_u32_e32 v11, vcc, 0, v11, vcc
	v_lshl_add_u64 v[0:1], v[8:9], 0, v[10:11]
	v_mad_u64_u32 v[6:7], s[2:3], v0, 6, 0
	v_mov_b32_e32 v8, v7
	v_mad_u64_u32 v[10:11], s[2:3], v1, 6, v[8:9]
	v_sub_co_u32_e32 v5, vcc, v3, v6
	v_cmp_lt_u32_e64 s[2:3], 5, v5
	s_nop 0
	v_subb_co_u32_e32 v8, vcc, v2, v10, vcc
	v_subrev_co_u32_e32 v2, vcc, 6, v5
	v_cndmask_b32_e64 v5, 0, -1, s[2:3]
	s_nop 0
	v_subbrev_co_u32_e32 v3, vcc, 0, v8, vcc
	v_cmp_lt_u32_e32 vcc, 5, v2
	v_cmp_eq_u32_e64 s[2:3], 0, v8
	v_lshl_add_u64 v[6:7], v[0:1], 0, 1
	v_cndmask_b32_e64 v2, 0, -1, vcc
	v_cmp_eq_u32_e32 vcc, 0, v3
	v_cndmask_b32_e64 v5, -1, v5, s[2:3]
	v_cmp_ne_u32_e64 s[2:3], 0, v5
	v_cndmask_b32_e32 v10, -1, v2, vcc
	v_lshl_add_u64 v[2:3], v[0:1], 0, 2
	v_cmp_ne_u32_e32 vcc, 0, v10
	s_nop 1
	v_cndmask_b32_e32 v3, v7, v3, vcc
	v_cndmask_b32_e32 v2, v6, v2, vcc
	v_cndmask_b32_e64 v1, v1, v3, s[2:3]
	v_cndmask_b32_e64 v0, v0, v2, s[2:3]
	s_add_u32 s2, 0, 0x55540000
	s_addc_u32 s3, 0, 0x55
	s_or_b32 s5, s3, 0x15555500
	s_mul_hi_u32 s7, s2, -12
	s_mul_i32 s8, s5, -12
	s_add_i32 s7, s7, s8
	s_mul_i32 s4, s2, -12
	s_sub_i32 s7, s7, s2
	s_mul_hi_u32 s3, s5, s4
	s_mul_i32 s6, s5, s4
	s_mul_i32 s9, s2, s7
	s_mul_hi_u32 s4, s2, s4
	v_xor_b32_e32 v0, v0, v4
	s_mul_hi_u32 s8, s2, s7
	s_add_u32 s4, s4, s9
	v_xor_b32_e32 v1, v1, v4
	v_sub_co_u32_e32 v2, vcc, v0, v4
	s_addc_u32 s8, 0, s8
	s_nop 0
	v_subb_co_u32_e32 v3, vcc, v1, v4, vcc
	s_add_u32 s4, s4, s6
	v_ashrrev_i32_e32 v0, 31, v3
	s_mul_hi_u32 s9, s5, s7
	s_addc_u32 s3, s8, s3
	v_mov_b32_e32 v1, v0
	s_addc_u32 s4, s9, 0
	s_mul_i32 s6, s5, s7
	v_lshl_add_u64 v[4:5], v[2:3], 0, v[0:1]
	s_add_u32 s3, s3, s6
	v_xor_b32_e32 v12, v4, v0
	v_mov_b32_e32 v4, s3
	s_addc_u32 s4, 0, s4
	v_add_co_u32_e32 v8, vcc, s2, v4
	s_cmp_lg_u64 vcc, 0
	v_xor_b32_e32 v1, v5, v0
	s_addc_u32 s4, s5, s4
	v_mad_u64_u32 v[4:5], s[2:3], v1, v8, 0
	v_mad_u64_u32 v[6:7], s[2:3], v12, s4, 0
	v_mul_hi_u32 v8, v12, v8
	v_lshl_add_u64 v[6:7], v[8:9], 0, v[6:7]
	v_add_co_u32_e32 v4, vcc, v6, v4
	v_mad_u64_u32 v[10:11], s[2:3], v1, s4, 0
	s_nop 0
	v_addc_co_u32_e32 v8, vcc, v7, v5, vcc
                                        ; implicit-def: $sgpr4_sgpr5
	s_nop 1
	v_addc_co_u32_e32 v11, vcc, 0, v11, vcc
	v_lshl_add_u64 v[4:5], v[8:9], 0, v[10:11]
	v_mad_u64_u32 v[6:7], s[2:3], v4, 12, 0
	v_mov_b32_e32 v4, v7
	v_mad_u64_u32 v[4:5], s[2:3], v5, 12, v[4:5]
	v_sub_co_u32_e32 v5, vcc, v12, v6
	v_cmp_lt_u32_e64 s[2:3], 11, v5
	s_nop 0
	v_subb_co_u32_e32 v1, vcc, v1, v4, vcc
	v_subrev_co_u32_e32 v4, vcc, 12, v5
	s_nop 1
	v_subbrev_co_u32_e32 v6, vcc, 0, v1, vcc
	v_subrev_co_u32_e32 v7, vcc, 12, v4
	s_nop 1
	v_subbrev_co_u32_e32 v8, vcc, 0, v6, vcc
	v_cmp_lt_u32_e32 vcc, 11, v4
	s_nop 1
	v_cndmask_b32_e64 v9, 0, -1, vcc
	v_cmp_eq_u32_e32 vcc, 0, v6
	s_nop 1
	v_cndmask_b32_e32 v9, -1, v9, vcc
	v_cmp_ne_u32_e32 vcc, 0, v9
	s_nop 1
	v_cndmask_b32_e32 v6, v6, v8, vcc
	v_cndmask_b32_e64 v8, 0, -1, s[2:3]
	v_cmp_eq_u32_e64 s[2:3], 0, v1
	v_cndmask_b32_e32 v4, v4, v7, vcc
	s_nop 0
	v_cndmask_b32_e64 v8, -1, v8, s[2:3]
	v_cmp_ne_u32_e64 s[2:3], 0, v8
	s_nop 1
	v_cndmask_b32_e64 v4, v5, v4, s[2:3]
	v_cndmask_b32_e64 v1, v1, v6, s[2:3]
	v_xor_b32_e32 v4, v4, v0
	v_xor_b32_e32 v1, v1, v0
	v_sub_co_u32_e32 v8, vcc, v4, v0
                                        ; implicit-def: $vgpr4_vgpr5
                                        ; implicit-def: $vgpr6_vgpr7
	s_nop 1
	v_subb_co_u32_e32 v9, vcc, v1, v0, vcc
	v_cmp_lt_i64_e32 vcc, 5, v[8:9]
	s_and_saveexec_b64 s[2:3], vcc
	s_xor_b64 s[2:3], exec, s[2:3]
; %bb.3:
	v_sub_co_u32_e32 v4, vcc, 12, v8
	s_mov_b64 s[4:5], 7
	s_nop 0
	v_subb_co_u32_e32 v5, vcc, 0, v9, vcc
	v_sub_co_u32_e32 v6, vcc, 11, v8
	s_nop 1
	v_subb_co_u32_e32 v7, vcc, 0, v9, vcc
                                        ; implicit-def: $vgpr8_vgpr9
; %bb.4:
	s_or_saveexec_b64 s[6:7], s[2:3]
	s_load_dwordx4 s[0:3], s[0:1], 0x20
	v_mov_b64_e32 v[0:1], s[4:5]
	s_xor_b64 exec, exec, s[6:7]
; %bb.5:
	v_lshl_add_u64 v[6:7], v[8:9], 0, 1
	v_mov_b64_e32 v[0:1], 0
	v_mov_b64_e32 v[4:5], v[8:9]
; %bb.6:
	s_or_b64 exec, exec, s[6:7]
	v_mad_u64_u32 v[8:9], s[4:5], v2, 6, 0
	v_mov_b32_e32 v2, v9
	s_getpc_b64 s[4:5]
	s_add_u32 s4, s4, __const._ZN8rajaperf14hex_intsc_subzEPKdS1_iiRdS2_S2_S2_.cyc_nod@rel32@lo+4
	s_addc_u32 s5, s5, __const._ZN8rajaperf14hex_intsc_subzEPKdS1_iiRdS2_S2_S2_.cyc_nod@rel32@hi+12
	v_lshl_add_u64 v[4:5], v[4:5], 2, s[4:5]
	v_lshl_add_u64 v[6:7], v[6:7], 2, s[4:5]
	v_mad_u64_u32 v[2:3], s[4:5], v3, 6, v[2:3]
	v_mov_b32_e32 v3, v2
	v_sub_co_u32_e32 v2, vcc, v34, v8
	s_getpc_b64 s[4:5]
	s_add_u32 s4, s4, __const._ZN8rajaperf14hex_intsc_subzEPKdS1_iiRdS2_S2_S2_.vert_cyc@rel32@lo+4
	s_addc_u32 s5, s5, __const._ZN8rajaperf14hex_intsc_subzEPKdS1_iiRdS2_S2_S2_.vert_cyc@rel32@hi+12
	v_subb_co_u32_e32 v3, vcc, v35, v3, vcc
	global_load_dword v10, v[4:5], off
	global_load_dword v12, v[6:7], off
	v_lshl_add_u64 v[4:5], v[2:3], 2, s[4:5]
	v_mov_b32_e32 v3, 43
	v_add_u16_e32 v2, 1, v2
	v_mul_lo_u16_sdwa v3, sext(v2), v3 dst_sel:DWORD dst_unused:UNUSED_PAD src0_sel:BYTE_0 src1_sel:DWORD
	global_load_dword v4, v[4:5], off
	v_lshrrev_b16_e32 v5, 15, v3
	v_add_u16_sdwa v3, v3, v5 dst_sel:DWORD dst_unused:UNUSED_PAD src0_sel:BYTE_1 src1_sel:DWORD
	v_mul_lo_u16_e32 v3, 6, v3
	v_sub_u16_e32 v2, v2, v3
	v_bfe_i32 v2, v2, 0, 8
	v_ashrrev_i32_e32 v3, 31, v2
	v_lshl_add_u64 v[2:3], v[2:3], 2, s[4:5]
	global_load_dword v2, v[2:3], off
	s_waitcnt lgkmcnt(0)
	v_mov_b32_e32 v6, s2
	s_movk_i32 s2, 0xc0
	v_mov_b32_e32 v8, s0
	v_mov_b32_e32 v9, s1
	v_mov_b32_e32 v7, s3
	v_mul_lo_u32 v3, v15, s2
	v_mad_u64_u32 v[8:9], s[0:1], v14, s2, v[8:9]
	v_mad_u64_u32 v[6:7], s[0:1], v14, s2, v[6:7]
	v_add_u32_e32 v9, v3, v9
	scratch_store_dwordx2 off, v[34:35], off offset:2468 ; 8-byte Folded Spill
	scratch_store_dwordx2 off, v[14:15], off offset:2564 ; 8-byte Folded Spill
	v_add_u32_e32 v7, v3, v7
	v_lshl_add_u64 v[0:1], v[0:1], 3, v[8:9]
	global_load_dwordx2 v[58:59], v[6:7], off
	global_load_dwordx4 v[54:57], v[6:7], off offset:56
	global_load_dwordx4 v[50:53], v[6:7], off offset:120
	global_load_dwordx2 v[14:15], v[6:7], off offset:184
	global_load_dwordx2 v[16:17], v[0:1], off
	global_load_dwordx2 v[18:19], v[0:1], off offset:64
	v_mov_b32_e32 v174, 1
	v_mov_b32_e32 v175, 2
	v_mov_b32_e32 v176, -1
	v_mov_b32_e32 v177, 4
	v_mov_b32_e32 v48, 0xe48e0530
	;; [unrolled: 1-line block ×4, first 2 shown]
	s_mov_b64 s[8:9], 0
	v_mov_b32_e32 v29, 0
	v_add_u32_e32 v68, 40, v28
	v_mov_b32_e32 v186, v176
	v_mov_b32_e32 v187, v176
                                        ; implicit-def: $sgpr36_sgpr37
	s_waitcnt vmcnt(11)
	v_ashrrev_i32_e32 v11, 31, v10
	s_waitcnt vmcnt(10)
	v_ashrrev_i32_e32 v13, 31, v12
	v_lshl_add_u64 v[10:11], v[10:11], 3, v[8:9]
	v_lshl_add_u64 v[8:9], v[12:13], 3, v[8:9]
	global_load_dwordx2 v[20:21], v[10:11], off
	global_load_dwordx2 v[22:23], v[10:11], off offset:64
	global_load_dwordx2 v[24:25], v[10:11], off offset:128
	;; [unrolled: 1-line block ×3, first 2 shown]
	global_load_dwordx2 v[30:31], v[8:9], off
	global_load_dwordx2 v[32:33], v[0:1], off offset:128
	global_load_dwordx2 v[34:35], v[8:9], off offset:128
	s_waitcnt vmcnt(16)
	v_ashrrev_i32_e32 v5, 31, v4
	v_lshl_add_u64 v[0:1], v[4:5], 3, v[6:7]
	global_load_dwordx2 v[36:37], v[0:1], off
	global_load_dwordx2 v[38:39], v[0:1], off offset:64
	global_load_dwordx2 v[40:41], v[0:1], off offset:128
	v_mov_b32_e32 v4, 3
	s_waitcnt vmcnt(18)
	v_ashrrev_i32_e32 v3, 31, v2
	v_lshl_add_u64 v[0:1], v[2:3], 3, v[6:7]
	global_load_dwordx2 v[42:43], v[0:1], off
	global_load_dwordx2 v[44:45], v[0:1], off offset:64
	global_load_dwordx2 v[46:47], v[0:1], off offset:128
	v_mov_b32_e32 v0, 5
	v_mov_b32_e32 v1, 6
	;; [unrolled: 1-line block ×4, first 2 shown]
	scratch_store_dwordx4 off, v[0:3], off offset:56
	scratch_store_dword off, v4, off offset:84
	scratch_store_dwordx4 off, v[174:177], off offset:40
	scratch_store_dword off, v176, off offset:72
	s_waitcnt vmcnt(22)
	scratch_store_dwordx2 off, v[58:59], off offset:2484 ; 8-byte Folded Spill
	s_waitcnt vmcnt(22)
	v_add_f64 v[62:63], v[54:55], -v[58:59]
	s_waitcnt vmcnt(21)
	v_add_f64 v[60:61], v[50:51], -v[56:57]
	;; [unrolled: 2-line block ×4, first 2 shown]
	v_add_f64 v[12:13], v[16:17], -v[58:59]
	scratch_store_dwordx2 off, v[50:51], off offset:2476 ; 8-byte Folded Spill
	v_mov_b32_e32 v177, v176
	scratch_store_dwordx2 off, v[62:63], off offset:2500 ; 8-byte Folded Spill
	scratch_store_dwordx2 off, v[60:61], off offset:2492 ; 8-byte Folded Spill
	s_waitcnt vmcnt(20)
	v_add_f64 v[4:5], v[20:21], -v[58:59]
	s_waitcnt vmcnt(19)
	v_add_f64 v[8:9], v[22:23], -v[56:57]
	;; [unrolled: 2-line block ×10, first 2 shown]
	v_mul_f64 v[24:25], v[54:55], v[62:63]
	v_mul_f64 v[22:23], v[64:65], v[50:51]
	v_fma_f64 v[24:25], v[66:67], v[50:51], -v[24:25]
	v_fma_f64 v[22:23], v[54:55], v[60:61], -v[22:23]
	v_mul_f64 v[30:31], v[14:15], v[24:25]
	v_mul_f64 v[32:33], v[8:9], v[24:25]
	;; [unrolled: 1-line block ×4, first 2 shown]
	v_fmac_f64_e32 v[30:31], v[12:13], v[22:23]
	v_fmac_f64_e32 v[32:33], v[4:5], v[22:23]
	;; [unrolled: 1-line block ×3, first 2 shown]
	v_mov_b64_e32 v[22:23], v[56:57]
	v_mul_f64 v[18:19], v[66:67], v[60:61]
	scratch_store_dwordx4 off, v[20:23], off offset:2452 ; 16-byte Folded Spill
	s_waitcnt vmcnt(10)
	v_add_f64 v[56:57], v[44:45], -v[56:57]
	s_waitcnt vmcnt(9)
	v_add_f64 v[46:47], v[46:47], -v[52:53]
	v_mov_b64_e32 v[22:23], v[52:53]
	v_fma_f64 v[26:27], v[64:65], v[62:63], -v[18:19]
	v_add_f64 v[58:59], v[42:43], -v[58:59]
	scratch_store_dwordx4 off, v[20:23], off offset:2436 ; 16-byte Folded Spill
	v_mul_f64 v[18:19], v[46:47], v[18:19]
	v_fmac_f64_e32 v[30:31], v[16:17], v[26:27]
	v_mul_f64 v[22:23], v[66:67], v[56:57]
	v_fmac_f64_e32 v[32:33], v[10:11], v[26:27]
	v_fmac_f64_e32 v[34:35], v[2:3], v[26:27]
	v_mul_f64 v[26:27], v[58:59], v[60:61]
	v_fma_f64 v[18:19], v[22:23], v[50:51], -v[18:19]
	v_mul_f64 v[24:25], v[64:65], v[58:59]
	v_fmac_f64_e32 v[18:19], v[54:55], v[26:27]
	v_fma_f64 v[18:19], -v[24:25], v[50:51], v[18:19]
	v_mul_f64 v[36:37], v[56:57], v[62:63]
	v_mul_f64 v[38:39], v[46:47], v[60:61]
	v_fmac_f64_e32 v[18:19], v[46:47], v[20:21]
	v_mul_f64 v[40:41], v[58:59], v[50:51]
	v_fma_f64 v[38:39], v[56:57], v[50:51], -v[38:39]
	v_fma_f64 v[50:51], -v[54:55], v[36:37], v[18:19]
	v_fmac_f64_e32 v[48:49], v[50:51], v[50:51]
	v_div_scale_f64 v[18:19], s[0:1], v[48:49], v[48:49], v[50:51]
	v_rcp_f64_e32 v[20:21], v[18:19]
	v_fma_f64 v[40:41], v[46:47], v[62:63], -v[40:41]
	v_mul_f64 v[26:27], v[14:15], v[40:41]
	v_mul_f64 v[44:45], v[8:9], v[40:41]
	;; [unrolled: 1-line block ×3, first 2 shown]
	v_fmac_f64_e32 v[26:27], v[12:13], v[38:39]
	v_fmac_f64_e32 v[44:45], v[4:5], v[38:39]
	;; [unrolled: 1-line block ×3, first 2 shown]
	v_fma_f64 v[38:39], -v[18:19], v[20:21], 1.0
	v_fmac_f64_e32 v[20:21], v[20:21], v[38:39]
	v_fma_f64 v[38:39], -v[18:19], v[20:21], 1.0
	v_fma_f64 v[42:43], v[58:59], v[60:61], -v[36:37]
	v_div_scale_f64 v[36:37], vcc, v[50:51], v[48:49], v[50:51]
	v_fmac_f64_e32 v[20:21], v[20:21], v[38:39]
	v_mul_f64 v[38:39], v[36:37], v[20:21]
	v_fma_f64 v[18:19], -v[18:19], v[38:39], v[36:37]
	s_nop 0
	v_div_fmas_f64 v[18:19], v[18:19], v[20:21], v[38:39]
	v_fmac_f64_e32 v[26:27], v[16:17], v[42:43]
	v_div_fixup_f64 v[18:19], v[18:19], v[48:49], v[50:51]
	v_fmac_f64_e32 v[44:45], v[10:11], v[42:43]
	v_fma_f64 v[20:21], -v[26:27], v[18:19], 1.0
	v_mul_f64 v[26:27], v[26:27], v[18:19]
	v_fmac_f64_e32 v[40:41], v[2:3], v[42:43]
	scratch_store_dwordx2 off, v[26:27], off offset:2412 ; 8-byte Folded Spill
	v_mul_f64 v[26:27], v[44:45], v[18:19]
	scratch_store_dwordx2 off, v[26:27], off offset:2428 ; 8-byte Folded Spill
	v_mul_f64 v[26:27], v[40:41], v[18:19]
	v_fma_f64 v[36:37], -v[44:45], v[18:19], 1.0
	scratch_store_dwordx2 off, v[26:27], off offset:2420 ; 8-byte Folded Spill
	v_fma_f64 v[26:27], -v[40:41], v[18:19], 1.0
	v_fma_f64 v[40:41], -v[30:31], v[18:19], v[20:21]
	v_mul_f64 v[178:179], v[30:31], v[18:19]
	v_mul_f64 v[74:75], v[32:33], v[18:19]
	;; [unrolled: 1-line block ×3, first 2 shown]
	v_fma_f64 v[42:43], -v[32:33], v[18:19], v[36:37]
	v_fma_f64 v[20:21], -v[34:35], v[18:19], v[26:27]
	v_mov_b64_e32 v[26:27], v[40:41]
	scratch_store_dwordx2 off, v[50:51], off offset:2508 ; 8-byte Folded Spill
	scratch_store_dwordx4 off, v[40:43], off
	scratch_store_dwordx2 off, v[20:21], off offset:16
.LBB2_7:                                ; =>This Inner Loop Header: Depth=1
	v_lshl_add_u32 v30, v29, 2, v68
	scratch_load_dword v32, v30, off
	v_cmp_le_f64_e32 vcc, 0, v[26:27]
	v_cmp_gt_f64_e64 s[0:1], 0, v[26:27]
	s_waitcnt vmcnt(0)
	v_max_i32_e32 v33, 0, v32
	v_lshl_add_u32 v30, v33, 3, v28
	scratch_load_dwordx2 v[30:31], v30, off
	v_cmp_gt_i32_e64 s[2:3], 0, v32
	s_waitcnt vmcnt(0)
	v_cmp_gt_f64_e64 s[4:5], 0, v[30:31]
	v_cmp_le_f64_e64 s[6:7], 0, v[30:31]
	s_and_b64 vcc, vcc, s[4:5]
	s_and_b64 s[4:5], s[0:1], s[6:7]
	s_or_b64 s[8:9], s[2:3], s[8:9]
	s_andn2_b64 s[2:3], s[36:37], exec
	s_and_b64 s[0:1], s[0:1], exec
	v_mov_b64_e32 v[26:27], v[30:31]
	v_cndmask_b32_e32 v187, v187, v33, vcc
	v_cndmask_b32_e64 v177, v177, v33, s[4:5]
	v_cndmask_b32_e32 v176, v176, v29, vcc
	v_cndmask_b32_e64 v186, v186, v29, s[4:5]
	v_mov_b32_e32 v29, v32
	s_or_b64 s[36:37], s[2:3], s[0:1]
	s_andn2_b64 exec, exec, s[8:9]
	s_cbranch_execnz .LBB2_7
; %bb.8:
	s_or_b64 exec, exec, s[8:9]
	v_mul_f64 v[28:29], v[66:67], v[46:47]
	v_mul_f64 v[26:27], v[54:55], v[56:57]
	v_fma_f64 v[28:29], v[54:55], v[58:59], -v[28:29]
	v_fma_f64 v[26:27], v[64:65], v[46:47], -v[26:27]
	v_mul_f64 v[8:9], v[8:9], v[28:29]
	v_mul_f64 v[14:15], v[14:15], v[28:29]
	v_fmac_f64_e32 v[8:9], v[4:5], v[26:27]
	v_mul_f64 v[4:5], v[6:7], v[28:29]
	v_add_f64 v[22:23], v[22:23], -v[24:25]
	v_fmac_f64_e32 v[14:15], v[12:13], v[26:27]
	v_fmac_f64_e32 v[4:5], v[0:1], v[26:27]
	v_fmac_f64_e32 v[14:15], v[16:17], v[22:23]
	v_fmac_f64_e32 v[8:9], v[10:11], v[22:23]
	v_fmac_f64_e32 v[4:5], v[2:3], v[22:23]
	v_mul_f64 v[184:185], v[14:15], v[18:19]
	v_mul_f64 v[254:255], v[8:9], v[18:19]
	v_mul_f64 v[180:181], v[4:5], v[18:19]
	v_fma_f64 v[188:189], -v[14:15], v[18:19], v[40:41]
	v_fma_f64 v[174:175], -v[8:9], v[18:19], v[42:43]
	;; [unrolled: 1-line block ×3, first 2 shown]
	v_cmp_lt_i32_e64 s[0:1], -1, v176
	v_mov_b32_e32 v34, -1
	v_mov_b32_e32 v32, -1
	;; [unrolled: 1-line block ×3, first 2 shown]
	scratch_store_dword off, v68, off offset:96 ; 4-byte Folded Spill
	scratch_store_dwordx2 off, v[56:57], off offset:2532 ; 8-byte Folded Spill
	scratch_store_dwordx2 off, v[64:65], off offset:2540 ; 8-byte Folded Spill
	;; [unrolled: 1-line block ×6, first 2 shown]
	s_mov_b64 s[38:39], exec
                                        ; implicit-def: $vgpr0_vgpr1_vgpr2_vgpr3_vgpr4_vgpr5_vgpr6_vgpr7_vgpr8_vgpr9_vgpr10_vgpr11_vgpr12_vgpr13_vgpr14_vgpr15_vgpr16_vgpr17_vgpr18_vgpr19_vgpr20_vgpr21_vgpr22_vgpr23_vgpr24_vgpr25_vgpr26_vgpr27_vgpr28_vgpr29_vgpr30_vgpr31
                                        ; kill: killed $vgpr0_vgpr1_vgpr2_vgpr3_vgpr4_vgpr5_vgpr6_vgpr7_vgpr8_vgpr9_vgpr10_vgpr11_vgpr12_vgpr13_vgpr14_vgpr15_vgpr16_vgpr17_vgpr18_vgpr19_vgpr20_vgpr21_vgpr22_vgpr23_vgpr24_vgpr25_vgpr26_vgpr27_vgpr28_vgpr29_vgpr30_vgpr31
                                        ; implicit-def: $agpr190_agpr191_agpr192_agpr193_agpr194_agpr195_agpr196_agpr197_agpr198_agpr199_agpr200_agpr201_agpr202_agpr203_agpr204_agpr205_agpr206_agpr207_agpr208_agpr209_agpr210_agpr211_agpr212_agpr213_agpr214_agpr215_agpr216_agpr217_agpr218_agpr219_agpr220_agpr221
                                        ; implicit-def: $agpr144_agpr145_agpr146_agpr147_agpr148_agpr149_agpr150_agpr151_agpr152_agpr153_agpr154_agpr155_agpr156_agpr157_agpr158_agpr159_agpr160_agpr161_agpr162_agpr163_agpr164_agpr165_agpr166_agpr167_agpr168_agpr169_agpr170_agpr171_agpr172_agpr173_agpr174_agpr175
                                        ; implicit-def: $agpr82_agpr83_agpr84_agpr85_agpr86_agpr87_agpr88_agpr89_agpr90_agpr91_agpr92_agpr93_agpr94_agpr95_agpr96_agpr97_agpr98_agpr99_agpr100_agpr101_agpr102_agpr103_agpr104_agpr105_agpr106_agpr107_agpr108_agpr109_agpr110_agpr111_agpr112_agpr113
	s_and_b64 s[2:3], s[38:39], s[0:1]
                                        ; implicit-def: $vgpr0_vgpr1_vgpr2_vgpr3_vgpr4_vgpr5_vgpr6_vgpr7_vgpr8_vgpr9_vgpr10_vgpr11_vgpr12_vgpr13_vgpr14_vgpr15_vgpr16_vgpr17_vgpr18_vgpr19_vgpr20_vgpr21_vgpr22_vgpr23_vgpr24_vgpr25_vgpr26_vgpr27_vgpr28_vgpr29_vgpr30_vgpr31
                                        ; kill: killed $vgpr0_vgpr1_vgpr2_vgpr3_vgpr4_vgpr5_vgpr6_vgpr7_vgpr8_vgpr9_vgpr10_vgpr11_vgpr12_vgpr13_vgpr14_vgpr15_vgpr16_vgpr17_vgpr18_vgpr19_vgpr20_vgpr21_vgpr22_vgpr23_vgpr24_vgpr25_vgpr26_vgpr27_vgpr28_vgpr29_vgpr30_vgpr31
                                        ; implicit-def: $agpr0_agpr1_agpr2_agpr3_agpr4_agpr5_agpr6_agpr7_agpr8_agpr9_agpr10_agpr11_agpr12_agpr13_agpr14_agpr15_agpr16_agpr17_agpr18_agpr19_agpr20_agpr21_agpr22_agpr23_agpr24_agpr25_agpr26_agpr27_agpr28_agpr29_agpr30_agpr31
                                        ; implicit-def: $agpr208_agpr209_agpr210_agpr211_agpr212_agpr213_agpr214_agpr215_agpr216_agpr217_agpr218_agpr219_agpr220_agpr221_agpr222_agpr223_agpr224_agpr225_agpr226_agpr227_agpr228_agpr229_agpr230_agpr231_agpr232_agpr233_agpr234_agpr235_agpr236_agpr237_agpr238_agpr239
                                        ; implicit-def: $agpr158_agpr159_agpr160_agpr161_agpr162_agpr163_agpr164_agpr165_agpr166_agpr167_agpr168_agpr169_agpr170_agpr171_agpr172_agpr173_agpr174_agpr175_agpr176_agpr177_agpr178_agpr179_agpr180_agpr181_agpr182_agpr183_agpr184_agpr185_agpr186_agpr187_agpr188_agpr189
                                        ; implicit-def: $vgpr222_vgpr223_vgpr224_vgpr225_vgpr226_vgpr227_vgpr228_vgpr229_vgpr230_vgpr231_vgpr232_vgpr233_vgpr234_vgpr235_vgpr236_vgpr237_vgpr238_vgpr239_vgpr240_vgpr241_vgpr242_vgpr243_vgpr244_vgpr245_vgpr246_vgpr247_vgpr248_vgpr249_vgpr250_vgpr251_vgpr252_vgpr253
                                        ; implicit-def: $vgpr190_vgpr191_vgpr192_vgpr193_vgpr194_vgpr195_vgpr196_vgpr197_vgpr198_vgpr199_vgpr200_vgpr201_vgpr202_vgpr203_vgpr204_vgpr205_vgpr206_vgpr207_vgpr208_vgpr209_vgpr210_vgpr211_vgpr212_vgpr213_vgpr214_vgpr215_vgpr216_vgpr217_vgpr218_vgpr219_vgpr220_vgpr221
                                        ; implicit-def: $vgpr110_vgpr111_vgpr112_vgpr113_vgpr114_vgpr115_vgpr116_vgpr117_vgpr118_vgpr119_vgpr120_vgpr121_vgpr122_vgpr123_vgpr124_vgpr125_vgpr126_vgpr127_vgpr128_vgpr129_vgpr130_vgpr131_vgpr132_vgpr133_vgpr134_vgpr135_vgpr136_vgpr137_vgpr138_vgpr139_vgpr140_vgpr141
                                        ; implicit-def: $agpr98_agpr99_agpr100_agpr101_agpr102_agpr103_agpr104_agpr105_agpr106_agpr107_agpr108_agpr109_agpr110_agpr111_agpr112_agpr113_agpr114_agpr115_agpr116_agpr117_agpr118_agpr119_agpr120_agpr121_agpr122_agpr123_agpr124_agpr125_agpr126_agpr127_agpr128_agpr129
                                        ; implicit-def: $vgpr142_vgpr143_vgpr144_vgpr145_vgpr146_vgpr147_vgpr148_vgpr149_vgpr150_vgpr151_vgpr152_vgpr153_vgpr154_vgpr155_vgpr156_vgpr157_vgpr158_vgpr159_vgpr160_vgpr161_vgpr162_vgpr163_vgpr164_vgpr165_vgpr166_vgpr167_vgpr168_vgpr169_vgpr170_vgpr171_vgpr172_vgpr173
                                        ; implicit-def: $vgpr76_vgpr77_vgpr78_vgpr79_vgpr80_vgpr81_vgpr82_vgpr83_vgpr84_vgpr85_vgpr86_vgpr87_vgpr88_vgpr89_vgpr90_vgpr91_vgpr92_vgpr93_vgpr94_vgpr95_vgpr96_vgpr97_vgpr98_vgpr99_vgpr100_vgpr101_vgpr102_vgpr103_vgpr104_vgpr105_vgpr106_vgpr107
                                        ; implicit-def: $agpr50_agpr51_agpr52_agpr53_agpr54_agpr55_agpr56_agpr57_agpr58_agpr59_agpr60_agpr61_agpr62_agpr63_agpr64_agpr65_agpr66_agpr67_agpr68_agpr69_agpr70_agpr71_agpr72_agpr73_agpr74_agpr75_agpr76_agpr77_agpr78_agpr79_agpr80_agpr81
                                        ; implicit-def: $vgpr120_vgpr121_vgpr122_vgpr123_vgpr124_vgpr125_vgpr126_vgpr127_vgpr128_vgpr129_vgpr130_vgpr131_vgpr132_vgpr133_vgpr134_vgpr135_vgpr136_vgpr137_vgpr138_vgpr139_vgpr140_vgpr141_vgpr142_vgpr143_vgpr144_vgpr145_vgpr146_vgpr147_vgpr148_vgpr149_vgpr150_vgpr151
                                        ; implicit-def: $vgpr0_vgpr1_vgpr2_vgpr3_vgpr4_vgpr5_vgpr6_vgpr7_vgpr8_vgpr9_vgpr10_vgpr11_vgpr12_vgpr13_vgpr14_vgpr15_vgpr16_vgpr17_vgpr18_vgpr19_vgpr20_vgpr21_vgpr22_vgpr23_vgpr24_vgpr25_vgpr26_vgpr27_vgpr28_vgpr29_vgpr30_vgpr31
                                        ; kill: killed $vgpr0_vgpr1_vgpr2_vgpr3_vgpr4_vgpr5_vgpr6_vgpr7_vgpr8_vgpr9_vgpr10_vgpr11_vgpr12_vgpr13_vgpr14_vgpr15_vgpr16_vgpr17_vgpr18_vgpr19_vgpr20_vgpr21_vgpr22_vgpr23_vgpr24_vgpr25_vgpr26_vgpr27_vgpr28_vgpr29_vgpr30_vgpr31
                                        ; implicit-def: $agpr224_agpr225_agpr226_agpr227_agpr228_agpr229_agpr230_agpr231_agpr232_agpr233_agpr234_agpr235_agpr236_agpr237_agpr238_agpr239_agpr240_agpr241_agpr242_agpr243_agpr244_agpr245_agpr246_agpr247_agpr248_agpr249_agpr250_agpr251_agpr252_agpr253_agpr254_agpr255
                                        ; implicit-def: $agpr112_agpr113_agpr114_agpr115_agpr116_agpr117_agpr118_agpr119_agpr120_agpr121_agpr122_agpr123_agpr124_agpr125_agpr126_agpr127_agpr128_agpr129_agpr130_agpr131_agpr132_agpr133_agpr134_agpr135_agpr136_agpr137_agpr138_agpr139_agpr140_agpr141_agpr142_agpr143
                                        ; implicit-def: $agpr18_agpr19_agpr20_agpr21_agpr22_agpr23_agpr24_agpr25_agpr26_agpr27_agpr28_agpr29_agpr30_agpr31_agpr32_agpr33_agpr34_agpr35_agpr36_agpr37_agpr38_agpr39_agpr40_agpr41_agpr42_agpr43_agpr44_agpr45_agpr46_agpr47_agpr48_agpr49
                                        ; implicit-def: $vgpr198_vgpr199_vgpr200_vgpr201_vgpr202_vgpr203_vgpr204_vgpr205_vgpr206_vgpr207_vgpr208_vgpr209_vgpr210_vgpr211_vgpr212_vgpr213_vgpr214_vgpr215_vgpr216_vgpr217_vgpr218_vgpr219_vgpr220_vgpr221_vgpr222_vgpr223_vgpr224_vgpr225_vgpr226_vgpr227_vgpr228_vgpr229
                                        ; implicit-def: $vgpr42_vgpr43_vgpr44_vgpr45_vgpr46_vgpr47_vgpr48_vgpr49_vgpr50_vgpr51_vgpr52_vgpr53_vgpr54_vgpr55_vgpr56_vgpr57_vgpr58_vgpr59_vgpr60_vgpr61_vgpr62_vgpr63_vgpr64_vgpr65_vgpr66_vgpr67_vgpr68_vgpr69_vgpr70_vgpr71_vgpr72_vgpr73
                                        ; implicit-def: $vgpr86_vgpr87_vgpr88_vgpr89_vgpr90_vgpr91_vgpr92_vgpr93_vgpr94_vgpr95_vgpr96_vgpr97_vgpr98_vgpr99_vgpr100_vgpr101_vgpr102_vgpr103_vgpr104_vgpr105_vgpr106_vgpr107_vgpr108_vgpr109_vgpr110_vgpr111_vgpr112_vgpr113_vgpr114_vgpr115_vgpr116_vgpr117
                                        ; implicit-def: $agpr170_agpr171_agpr172_agpr173_agpr174_agpr175_agpr176_agpr177_agpr178_agpr179_agpr180_agpr181_agpr182_agpr183_agpr184_agpr185_agpr186_agpr187_agpr188_agpr189_agpr190_agpr191_agpr192_agpr193_agpr194_agpr195_agpr196_agpr197_agpr198_agpr199_agpr200_agpr201
                                        ; implicit-def: $vgpr0_vgpr1_vgpr2_vgpr3_vgpr4_vgpr5_vgpr6_vgpr7_vgpr8_vgpr9_vgpr10_vgpr11_vgpr12_vgpr13_vgpr14_vgpr15_vgpr16_vgpr17_vgpr18_vgpr19_vgpr20_vgpr21_vgpr22_vgpr23_vgpr24_vgpr25_vgpr26_vgpr27_vgpr28_vgpr29_vgpr30_vgpr31
                                        ; kill: killed $vgpr0_vgpr1_vgpr2_vgpr3_vgpr4_vgpr5_vgpr6_vgpr7_vgpr8_vgpr9_vgpr10_vgpr11_vgpr12_vgpr13_vgpr14_vgpr15_vgpr16_vgpr17_vgpr18_vgpr19_vgpr20_vgpr21_vgpr22_vgpr23_vgpr24_vgpr25_vgpr26_vgpr27_vgpr28_vgpr29_vgpr30_vgpr31
                                        ; implicit-def: $vgpr0_vgpr1_vgpr2_vgpr3_vgpr4_vgpr5_vgpr6_vgpr7_vgpr8_vgpr9_vgpr10_vgpr11_vgpr12_vgpr13_vgpr14_vgpr15_vgpr16_vgpr17_vgpr18_vgpr19_vgpr20_vgpr21_vgpr22_vgpr23_vgpr24_vgpr25_vgpr26_vgpr27_vgpr28_vgpr29_vgpr30_vgpr31
                                        ; kill: killed $vgpr0_vgpr1_vgpr2_vgpr3_vgpr4_vgpr5_vgpr6_vgpr7_vgpr8_vgpr9_vgpr10_vgpr11_vgpr12_vgpr13_vgpr14_vgpr15_vgpr16_vgpr17_vgpr18_vgpr19_vgpr20_vgpr21_vgpr22_vgpr23_vgpr24_vgpr25_vgpr26_vgpr27_vgpr28_vgpr29_vgpr30_vgpr31
	;; [unrolled: 2-line block ×16, first 2 shown]
	s_mov_b64 exec, s[2:3]
	s_cbranch_execz .LBB2_10
; %bb.9:
	v_mov_b32_e32 v4, 0
	v_lshl_add_u32 v5, v187, 3, v4
	v_lshl_add_u32 v6, v176, 3, v4
	scratch_load_dwordx2 v[0:1], v5, off
	scratch_load_dwordx2 v[2:3], v6, off
	scratch_load_dwordx2 v[26:27], off, off offset:2428 ; 8-byte Folded Reload
	scratch_load_dwordx2 v[28:29], off, off offset:2412 ; 8-byte Folded Reload
	;; [unrolled: 1-line block ×3, first 2 shown]
	v_cmp_eq_u32_e64 s[2:3], 1, v176
	v_cmp_eq_u32_e64 s[4:5], 1, v187
	;; [unrolled: 1-line block ×4, first 2 shown]
	v_lshl_add_u32 v12, v186, 3, v4
	v_cmp_eq_u32_e64 s[14:15], 3, v176
	v_cmp_eq_u32_e64 s[10:11], 3, v187
	v_lshl_add_u32 v13, v177, 3, v4
	v_mov_b64_e32 v[32:33], v[74:75]
	v_cndmask_b32_e64 v9, v179, v33, s[2:3]
	v_mov_b64_e32 v[30:31], v[38:39]
	v_cndmask_b32_e64 v10, v178, v32, s[2:3]
	v_cndmask_b32_e64 v11, v179, v33, s[4:5]
	;; [unrolled: 1-line block ×3, first 2 shown]
	v_cmp_eq_u32_e64 s[18:19], 4, v176
	v_cmp_eq_u32_e64 s[12:13], 4, v187
	v_cndmask_b32_e64 v10, v10, v30, s[8:9]
	v_cndmask_b32_e64 v11, v11, v31, s[6:7]
	v_cmp_eq_u32_e64 s[22:23], 5, v176
	v_cmp_eq_u32_e64 s[16:17], 5, v187
	;; [unrolled: 1-line block ×8, first 2 shown]
                                        ; implicit-def: $agpr190_agpr191_agpr192_agpr193_agpr194_agpr195_agpr196_agpr197_agpr198_agpr199_agpr200_agpr201_agpr202_agpr203_agpr204_agpr205_agpr206_agpr207_agpr208_agpr209_agpr210_agpr211_agpr212_agpr213_agpr214_agpr215_agpr216_agpr217_agpr218_agpr219_agpr220_agpr221
                                        ; implicit-def: $agpr144_agpr145_agpr146_agpr147_agpr148_agpr149_agpr150_agpr151_agpr152_agpr153_agpr154_agpr155_agpr156_agpr157_agpr158_agpr159_agpr160_agpr161_agpr162_agpr163_agpr164_agpr165_agpr166_agpr167_agpr168_agpr169_agpr170_agpr171_agpr172_agpr173_agpr174_agpr175
                                        ; implicit-def: $agpr82_agpr83_agpr84_agpr85_agpr86_agpr87_agpr88_agpr89_agpr90_agpr91_agpr92_agpr93_agpr94_agpr95_agpr96_agpr97_agpr98_agpr99_agpr100_agpr101_agpr102_agpr103_agpr104_agpr105_agpr106_agpr107_agpr108_agpr109_agpr110_agpr111_agpr112_agpr113
                                        ; implicit-def: $agpr0_agpr1_agpr2_agpr3_agpr4_agpr5_agpr6_agpr7_agpr8_agpr9_agpr10_agpr11_agpr12_agpr13_agpr14_agpr15_agpr16_agpr17_agpr18_agpr19_agpr20_agpr21_agpr22_agpr23_agpr24_agpr25_agpr26_agpr27_agpr28_agpr29_agpr30_agpr31
                                        ; implicit-def: $agpr208_agpr209_agpr210_agpr211_agpr212_agpr213_agpr214_agpr215_agpr216_agpr217_agpr218_agpr219_agpr220_agpr221_agpr222_agpr223_agpr224_agpr225_agpr226_agpr227_agpr228_agpr229_agpr230_agpr231_agpr232_agpr233_agpr234_agpr235_agpr236_agpr237_agpr238_agpr239
                                        ; implicit-def: $agpr158_agpr159_agpr160_agpr161_agpr162_agpr163_agpr164_agpr165_agpr166_agpr167_agpr168_agpr169_agpr170_agpr171_agpr172_agpr173_agpr174_agpr175_agpr176_agpr177_agpr178_agpr179_agpr180_agpr181_agpr182_agpr183_agpr184_agpr185_agpr186_agpr187_agpr188_agpr189
                                        ; implicit-def: $vgpr222_vgpr223_vgpr224_vgpr225_vgpr226_vgpr227_vgpr228_vgpr229_vgpr230_vgpr231_vgpr232_vgpr233_vgpr234_vgpr235_vgpr236_vgpr237_vgpr238_vgpr239_vgpr240_vgpr241_vgpr242_vgpr243_vgpr244_vgpr245_vgpr246_vgpr247_vgpr248_vgpr249_vgpr250_vgpr251_vgpr252_vgpr253
                                        ; implicit-def: $agpr98_agpr99_agpr100_agpr101_agpr102_agpr103_agpr104_agpr105_agpr106_agpr107_agpr108_agpr109_agpr110_agpr111_agpr112_agpr113_agpr114_agpr115_agpr116_agpr117_agpr118_agpr119_agpr120_agpr121_agpr122_agpr123_agpr124_agpr125_agpr126_agpr127_agpr128_agpr129
                                        ; implicit-def: $agpr224_agpr225_agpr226_agpr227_agpr228_agpr229_agpr230_agpr231_agpr232_agpr233_agpr234_agpr235_agpr236_agpr237_agpr238_agpr239_agpr240_agpr241_agpr242_agpr243_agpr244_agpr245_agpr246_agpr247_agpr248_agpr249_agpr250_agpr251_agpr252_agpr253_agpr254_agpr255
                                        ; implicit-def: $agpr50_agpr51_agpr52_agpr53_agpr54_agpr55_agpr56_agpr57_agpr58_agpr59_agpr60_agpr61_agpr62_agpr63_agpr64_agpr65_agpr66_agpr67_agpr68_agpr69_agpr70_agpr71_agpr72_agpr73_agpr74_agpr75_agpr76_agpr77_agpr78_agpr79_agpr80_agpr81
                                        ; implicit-def: $agpr112_agpr113_agpr114_agpr115_agpr116_agpr117_agpr118_agpr119_agpr120_agpr121_agpr122_agpr123_agpr124_agpr125_agpr126_agpr127_agpr128_agpr129_agpr130_agpr131_agpr132_agpr133_agpr134_agpr135_agpr136_agpr137_agpr138_agpr139_agpr140_agpr141_agpr142_agpr143
                                        ; implicit-def: $vgpr142_vgpr143_vgpr144_vgpr145_vgpr146_vgpr147_vgpr148_vgpr149_vgpr150_vgpr151_vgpr152_vgpr153_vgpr154_vgpr155_vgpr156_vgpr157_vgpr158_vgpr159_vgpr160_vgpr161_vgpr162_vgpr163_vgpr164_vgpr165_vgpr166_vgpr167_vgpr168_vgpr169_vgpr170_vgpr171_vgpr172_vgpr173
                                        ; implicit-def: $agpr18_agpr19_agpr20_agpr21_agpr22_agpr23_agpr24_agpr25_agpr26_agpr27_agpr28_agpr29_agpr30_agpr31_agpr32_agpr33_agpr34_agpr35_agpr36_agpr37_agpr38_agpr39_agpr40_agpr41_agpr42_agpr43_agpr44_agpr45_agpr46_agpr47_agpr48_agpr49
                                        ; implicit-def: $vgpr198_vgpr199_vgpr200_vgpr201_vgpr202_vgpr203_vgpr204_vgpr205_vgpr206_vgpr207_vgpr208_vgpr209_vgpr210_vgpr211_vgpr212_vgpr213_vgpr214_vgpr215_vgpr216_vgpr217_vgpr218_vgpr219_vgpr220_vgpr221_vgpr222_vgpr223_vgpr224_vgpr225_vgpr226_vgpr227_vgpr228_vgpr229
                                        ; implicit-def: $agpr170_agpr171_agpr172_agpr173_agpr174_agpr175_agpr176_agpr177_agpr178_agpr179_agpr180_agpr181_agpr182_agpr183_agpr184_agpr185_agpr186_agpr187_agpr188_agpr189_agpr190_agpr191_agpr192_agpr193_agpr194_agpr195_agpr196_agpr197_agpr198_agpr199_agpr200_agpr201
	s_waitcnt vmcnt(4)
	v_cndmask_b32_e64 v9, v9, v0, s[14:15]
	v_cndmask_b32_e64 v10, v10, v0, s[14:15]
	s_waitcnt vmcnt(1)
	v_cndmask_b32_e64 v5, v29, v27, s[2:3]
	v_cndmask_b32_e64 v6, v29, v27, s[4:5]
	;; [unrolled: 3-line block ×3, first 2 shown]
	v_cndmask_b32_e64 v6, v6, v25, s[6:7]
	v_cndmask_b32_e64 v14, v5, v0, s[14:15]
	;; [unrolled: 1-line block ×4, first 2 shown]
	scratch_load_dwordx2 v[4:5], v12, off
	scratch_load_dwordx2 v[6:7], v13, off
	v_cndmask_b32_e64 v8, v28, v26, s[4:5]
	v_cndmask_b32_e64 v8, v8, v24, s[6:7]
	;; [unrolled: 1-line block ×38, first 2 shown]
	v_add_f64 v[14:15], -v[0:1], 0
	v_add_f64 v[0:1], v[2:3], -v[0:1]
	v_div_scale_f64 v[2:3], s[40:41], v[0:1], v[0:1], v[14:15]
	v_rcp_f64_e32 v[16:17], v[2:3]
	v_cndmask_b32_e64 v12, v18, v0, s[34:35]
	v_div_scale_f64 v[18:19], vcc, v[14:15], v[0:1], v[14:15]
	v_fma_f64 v[20:21], -v[2:3], v[16:17], 1.0
	v_fmac_f64_e32 v[16:17], v[16:17], v[20:21]
	v_fma_f64 v[20:21], -v[2:3], v[16:17], 1.0
	v_fmac_f64_e32 v[16:17], v[16:17], v[20:21]
	v_mul_f64 v[20:21], v[18:19], v[16:17]
	v_fma_f64 v[2:3], -v[2:3], v[20:21], v[18:19]
	v_div_fmas_f64 v[2:3], v[2:3], v[16:17], v[20:21]
	v_div_fixup_f64 v[0:1], v[2:3], v[0:1], v[14:15]
	v_add_f64 v[2:3], -v[0:1], 1.0
	v_mul_f64 v[14:15], v[10:11], v[2:3]
	v_fmac_f64_e32 v[14:15], v[8:9], v[0:1]
	v_cndmask_b32_e64 v8, v178, v32, s[4:5]
	v_cndmask_b32_e64 v8, v8, v30, s[6:7]
	;; [unrolled: 1-line block ×10, first 2 shown]
	v_mul_f64 v[48:49], v[8:9], v[2:3]
	v_cndmask_b32_e64 v8, v185, v255, s[2:3]
	v_cndmask_b32_e64 v10, v10, v181, s[6:7]
	;; [unrolled: 1-line block ×31, first 2 shown]
	v_mul_f64 v[126:127], v[10:11], v[2:3]
	v_cndmask_b32_e64 v10, v189, v175, s[4:5]
	v_fmac_f64_e32 v[126:127], v[8:9], v[0:1]
	v_cndmask_b32_e64 v8, v189, v175, s[2:3]
	v_cndmask_b32_e64 v10, v10, v183, s[6:7]
	;; [unrolled: 1-line block ×31, first 2 shown]
	v_mul_f64 v[196:197], v[10:11], v[2:3]
	v_fmac_f64_e32 v[48:49], v[12:13], v[0:1]
	v_fmac_f64_e32 v[196:197], v[8:9], v[0:1]
	s_waitcnt vmcnt(1)
	v_add_f64 v[0:1], -v[4:5], 0
	s_waitcnt vmcnt(0)
	v_add_f64 v[2:3], v[6:7], -v[4:5]
	v_div_scale_f64 v[4:5], s[2:3], v[2:3], v[2:3], v[0:1]
	v_rcp_f64_e32 v[6:7], v[4:5]
	v_cmp_eq_u32_e64 s[2:3], 2, v177
	v_cmp_eq_u32_e64 s[4:5], 3, v177
	;; [unrolled: 1-line block ×3, first 2 shown]
	v_fma_f64 v[8:9], -v[4:5], v[6:7], 1.0
	v_fmac_f64_e32 v[6:7], v[6:7], v[8:9]
	v_fma_f64 v[8:9], -v[4:5], v[6:7], 1.0
	v_fmac_f64_e32 v[6:7], v[6:7], v[8:9]
	v_div_scale_f64 v[8:9], vcc, v[0:1], v[2:3], v[0:1]
	v_mul_f64 v[10:11], v[8:9], v[6:7]
	v_fma_f64 v[4:5], -v[4:5], v[10:11], v[8:9]
	v_cmp_eq_u32_e64 s[8:9], 5, v177
	s_nop 0
	v_div_fmas_f64 v[4:5], v[4:5], v[6:7], v[10:11]
	v_cmp_eq_u32_e32 vcc, 1, v177
	v_div_fixup_f64 v[0:1], v[4:5], v[2:3], v[0:1]
	v_cmp_eq_u32_e64 s[10:11], 6, v177
	v_cndmask_b32_e32 v2, v29, v27, vcc
	v_cndmask_b32_e64 v2, v2, v25, s[2:3]
	v_cndmask_b32_e64 v2, v2, v15, s[4:5]
	;; [unrolled: 1-line block ×5, first 2 shown]
	v_cmp_eq_u32_e64 s[12:13], 7, v177
	v_cmp_eq_u32_e64 s[16:17], 1, v186
	;; [unrolled: 1-line block ×3, first 2 shown]
	v_cndmask_b32_e64 v2, v2, v0, s[12:13]
	v_cndmask_b32_e64 v4, v29, v27, s[16:17]
	v_cmp_eq_u32_e64 s[18:19], 2, v186
	v_cndmask_b32_e64 v3, v2, v0, s[14:15]
	v_cndmask_b32_e32 v2, v28, v26, vcc
	v_cndmask_b32_e64 v4, v4, v25, s[18:19]
	v_cmp_eq_u32_e64 s[20:21], 3, v186
	v_cndmask_b32_e64 v2, v2, v24, s[2:3]
	v_cmp_eq_u32_e64 s[22:23], 4, v186
	v_cndmask_b32_e64 v4, v4, v15, s[20:21]
	v_cndmask_b32_e64 v2, v2, v14, s[4:5]
	v_cndmask_b32_e64 v4, v4, v0, s[22:23]
	v_cmp_eq_u32_e64 s[24:25], 5, v186
	v_cndmask_b32_e64 v2, v2, v0, s[6:7]
	v_cmp_eq_u32_e64 s[26:27], 6, v186
	v_cndmask_b32_e64 v4, v4, v0, s[24:25]
	v_cndmask_b32_e64 v2, v2, v0, s[8:9]
	;; [unrolled: 6-line block ×3, first 2 shown]
	v_cndmask_b32_e64 v5, v4, v0, s[30:31]
	v_cndmask_b32_e64 v4, v28, v26, s[16:17]
	;; [unrolled: 1-line block ×4, first 2 shown]
	v_mov_b64_e32 v[6:7], v[14:15]
	scratch_store_dwordx4 off, v[0:3], off offset:100 ; 16-byte Folded Spill
	s_nop 0
	scratch_store_dwordx4 off, v[4:7], off offset:116 ; 16-byte Folded Spill
	scratch_store_dwordx4 off, v[8:11], off offset:132 ; 16-byte Folded Spill
	;; [unrolled: 1-line block ×7, first 2 shown]
	v_cndmask_b32_e64 v4, v4, v14, s[20:21]
	v_cndmask_b32_e64 v4, v4, v0, s[22:23]
	;; [unrolled: 1-line block ×6, first 2 shown]
	v_add_f64 v[6:7], -v[0:1], 1.0
	v_mul_f64 v[8:9], v[6:7], v[4:5]
	v_fmac_f64_e32 v[8:9], v[0:1], v[2:3]
	scratch_store_dwordx4 off, v[0:3], off offset:228 ; 16-byte Folded Spill
	s_nop 0
	scratch_store_dwordx4 off, v[4:7], off offset:244 ; 16-byte Folded Spill
	scratch_store_dwordx4 off, v[8:11], off offset:260 ; 16-byte Folded Spill
	;; [unrolled: 1-line block ×7, first 2 shown]
	v_cndmask_b32_e32 v2, v179, v33, vcc
	v_cndmask_b32_e32 v3, v178, v32, vcc
	v_cndmask_b32_e64 v5, v178, v32, s[16:17]
	v_mov_b32_e32 v32, 3
	v_cndmask_b32_e64 v2, v2, v31, s[2:3]
	v_cndmask_b32_e64 v3, v3, v30, s[2:3]
	;; [unrolled: 1-line block ×29, first 2 shown]
	v_mul_f64 v[94:95], v[6:7], v[4:5]
	v_fmac_f64_e32 v[94:95], v[0:1], v[2:3]
	v_cndmask_b32_e32 v2, v185, v255, vcc
	v_cndmask_b32_e32 v3, v184, v254, vcc
	v_cndmask_b32_e64 v2, v2, v181, s[2:3]
	v_cndmask_b32_e64 v3, v3, v180, s[2:3]
	;; [unrolled: 1-line block ×30, first 2 shown]
	v_mul_f64 v[84:85], v[6:7], v[4:5]
	v_fmac_f64_e32 v[84:85], v[0:1], v[2:3]
	v_cndmask_b32_e32 v2, v189, v175, vcc
	v_cndmask_b32_e32 v3, v188, v174, vcc
	v_cndmask_b32_e64 v2, v2, v183, s[2:3]
	v_cndmask_b32_e64 v3, v3, v182, s[2:3]
	;; [unrolled: 1-line block ×30, first 2 shown]
	v_mul_f64 v[118:119], v[6:7], v[4:5]
	v_fmac_f64_e32 v[118:119], v[0:1], v[2:3]
	v_mov_b32_e32 v0, 5
	scratch_store_dword off, v0, off offset:84
                                        ; implicit-def: $vgpr0_vgpr1_vgpr2_vgpr3_vgpr4_vgpr5_vgpr6_vgpr7_vgpr8_vgpr9_vgpr10_vgpr11_vgpr12_vgpr13_vgpr14_vgpr15_vgpr16_vgpr17_vgpr18_vgpr19_vgpr20_vgpr21_vgpr22_vgpr23_vgpr24_vgpr25_vgpr26_vgpr27_vgpr28_vgpr29_vgpr30_vgpr31
                                        ; kill: killed $vgpr0_vgpr1_vgpr2_vgpr3_vgpr4_vgpr5_vgpr6_vgpr7_vgpr8_vgpr9_vgpr10_vgpr11_vgpr12_vgpr13_vgpr14_vgpr15_vgpr16_vgpr17_vgpr18_vgpr19_vgpr20_vgpr21_vgpr22_vgpr23_vgpr24_vgpr25_vgpr26_vgpr27_vgpr28_vgpr29_vgpr30_vgpr31
                                        ; implicit-def: $vgpr0_vgpr1_vgpr2_vgpr3_vgpr4_vgpr5_vgpr6_vgpr7_vgpr8_vgpr9_vgpr10_vgpr11_vgpr12_vgpr13_vgpr14_vgpr15_vgpr16_vgpr17_vgpr18_vgpr19_vgpr20_vgpr21_vgpr22_vgpr23_vgpr24_vgpr25_vgpr26_vgpr27_vgpr28_vgpr29_vgpr30_vgpr31
                                        ; kill: killed $vgpr0_vgpr1_vgpr2_vgpr3_vgpr4_vgpr5_vgpr6_vgpr7_vgpr8_vgpr9_vgpr10_vgpr11_vgpr12_vgpr13_vgpr14_vgpr15_vgpr16_vgpr17_vgpr18_vgpr19_vgpr20_vgpr21_vgpr22_vgpr23_vgpr24_vgpr25_vgpr26_vgpr27_vgpr28_vgpr29_vgpr30_vgpr31
	;; [unrolled: 2-line block ×14, first 2 shown]
                                        ; implicit-def: $vgpr0_vgpr1_vgpr2_vgpr3_vgpr4_vgpr5_vgpr6_vgpr7_vgpr8_vgpr9_vgpr10_vgpr11_vgpr12_vgpr13_vgpr14_vgpr15_vgpr16_vgpr17_vgpr18_vgpr19_vgpr20_vgpr21_vgpr22_vgpr23_vgpr24_vgpr25_vgpr26_vgpr27_vgpr28_vgpr29_vgpr30_vgpr31
	v_mov_b32_e32 v33, 4
                                        ; kill: killed $vgpr0_vgpr1_vgpr2_vgpr3_vgpr4_vgpr5_vgpr6_vgpr7_vgpr8_vgpr9_vgpr10_vgpr11_vgpr12_vgpr13_vgpr14_vgpr15_vgpr16_vgpr17_vgpr18_vgpr19_vgpr20_vgpr21_vgpr22_vgpr23_vgpr24_vgpr25_vgpr26_vgpr27_vgpr28_vgpr29_vgpr30_vgpr31
                                        ; implicit-def: $vgpr0_vgpr1_vgpr2_vgpr3_vgpr4_vgpr5_vgpr6_vgpr7_vgpr8_vgpr9_vgpr10_vgpr11_vgpr12_vgpr13_vgpr14_vgpr15_vgpr16_vgpr17_vgpr18_vgpr19_vgpr20_vgpr21_vgpr22_vgpr23_vgpr24_vgpr25_vgpr26_vgpr27_vgpr28_vgpr29_vgpr30_vgpr31
                                        ; kill: killed $vgpr0_vgpr1_vgpr2_vgpr3_vgpr4_vgpr5_vgpr6_vgpr7_vgpr8_vgpr9_vgpr10_vgpr11_vgpr12_vgpr13_vgpr14_vgpr15_vgpr16_vgpr17_vgpr18_vgpr19_vgpr20_vgpr21_vgpr22_vgpr23_vgpr24_vgpr25_vgpr26_vgpr27_vgpr28_vgpr29_vgpr30_vgpr31
                                        ; implicit-def: $vgpr0_vgpr1_vgpr2_vgpr3_vgpr4_vgpr5_vgpr6_vgpr7_vgpr8_vgpr9_vgpr10_vgpr11_vgpr12_vgpr13_vgpr14_vgpr15_vgpr16_vgpr17_vgpr18_vgpr19_vgpr20_vgpr21_vgpr22_vgpr23_vgpr24_vgpr25_vgpr26_vgpr27_vgpr28_vgpr29_vgpr30_vgpr31
                                        ; kill: killed $vgpr0_vgpr1_vgpr2_vgpr3_vgpr4_vgpr5_vgpr6_vgpr7_vgpr8_vgpr9_vgpr10_vgpr11_vgpr12_vgpr13_vgpr14_vgpr15_vgpr16_vgpr17_vgpr18_vgpr19_vgpr20_vgpr21_vgpr22_vgpr23_vgpr24_vgpr25_vgpr26_vgpr27_vgpr28_vgpr29_vgpr30_vgpr31
.LBB2_10:
	s_or_b64 exec, exec, s[38:39]
	scratch_store_dword off, v34, off offset:80
	scratch_load_dwordx2 v[108:109], off, off offset:2420 ; 8-byte Folded Reload
	scratch_load_dwordx2 v[110:111], off, off offset:2428 ; 8-byte Folded Reload
	;; [unrolled: 1-line block ×3, first 2 shown]
	s_mov_b64 s[2:3], 0
	v_mov_b32_e32 v0, 0
	v_mov_b64_e32 v[114:115], v[38:39]
	v_mov_b64_e32 v[116:117], v[74:75]
	s_branch .LBB2_12
.LBB2_11:                               ;   in Loop: Header=BB2_12 Depth=1
	s_or_b64 exec, exec, s[6:7]
	s_waitcnt vmcnt(0)
	v_cmp_gt_i32_e32 vcc, 0, v1
	s_or_b64 s[2:3], vcc, s[2:3]
	v_mov_b32_e32 v0, v1
	s_andn2_b64 exec, exec, s[2:3]
	s_cbranch_execz .LBB2_18
.LBB2_12:                               ; =>This Inner Loop Header: Depth=1
	v_lshlrev_b32_e32 v1, 2, v0
	v_add_u32_e32 v3, 0, v1
	v_add_u32_e32 v2, v3, v1
	scratch_load_dwordx2 v[4:5], v2, off
	scratch_load_dword v1, v3, off offset:40
	s_mov_b64 s[4:5], 0
                                        ; implicit-def: $vgpr2
	s_waitcnt vmcnt(1)
	v_cmp_ngt_f64_e32 vcc, 0, v[4:5]
	s_and_saveexec_b64 s[6:7], vcc
	s_xor_b64 s[6:7], exec, s[6:7]
	s_cbranch_execnz .LBB2_15
; %bb.13:                               ;   in Loop: Header=BB2_12 Depth=1
	s_andn2_saveexec_b64 s[6:7], s[6:7]
	s_cbranch_execnz .LBB2_16
.LBB2_14:                               ;   in Loop: Header=BB2_12 Depth=1
	s_or_b64 exec, exec, s[6:7]
	s_and_saveexec_b64 s[6:7], s[4:5]
	s_cbranch_execz .LBB2_11
	s_branch .LBB2_17
.LBB2_15:                               ;   in Loop: Header=BB2_12 Depth=1
	scratch_load_dword v2, off, off offset:80
                                        ; implicit-def: $vgpr3
	s_waitcnt vmcnt(0)
	v_cmp_eq_u32_e32 vcc, -1, v2
	v_mov_b32_e32 v2, 0x50
	s_and_b64 s[4:5], vcc, exec
	s_andn2_saveexec_b64 s[6:7], s[6:7]
	s_cbranch_execz .LBB2_14
.LBB2_16:                               ;   in Loop: Header=BB2_12 Depth=1
	scratch_load_dword v4, off, off offset:84
	v_mov_b32_e32 v2, 0x54
	s_or_b64 s[4:5], s[4:5], exec
	s_waitcnt vmcnt(0)
	scratch_store_dword v3, v4, off offset:40
	s_or_b64 exec, exec, s[6:7]
	s_and_saveexec_b64 s[6:7], s[4:5]
	s_cbranch_execz .LBB2_11
.LBB2_17:                               ;   in Loop: Header=BB2_12 Depth=1
	scratch_store_dword v2, v0, off
	s_branch .LBB2_11
.LBB2_18:
	s_or_b64 exec, exec, s[2:3]
	s_and_saveexec_b64 s[2:3], s[0:1]
	s_cbranch_execz .LBB2_20
; %bb.19:
	v_lshlrev_b32_e32 v0, 2, v33
	v_mov_b32_e32 v1, 0
	v_cmp_gt_f64_e32 vcc, 0, v[40:41]
	v_lshlrev_b32_e32 v3, 2, v32
	v_lshlrev_b32_e32 v4, 2, v176
	v_add3_u32 v0, v1, v0, 40
	s_or_b64 s[0:1], s[36:37], vcc
	v_add3_u32 v3, v1, v3, 40
	v_add3_u32 v1, v1, v4, 40
	v_cndmask_b32_e64 v2, v177, -1, s[0:1]
	scratch_store_dword v1, v32, off
	scratch_store_dword v3, v33, off
	;; [unrolled: 1-line block ×3, first 2 shown]
.LBB2_20:
	s_or_b64 exec, exec, s[2:3]
	scratch_load_dword v100, off, off offset:80
	scratch_load_dwordx4 v[12:15], off, off offset:100 ; 16-byte Folded Reload
	scratch_load_dwordx4 v[16:19], off, off offset:116 ; 16-byte Folded Reload
	;; [unrolled: 1-line block ×8, first 2 shown]
	v_mov_b32_e32 v101, -1
	v_mov_b32_e32 v102, -1
	s_waitcnt vmcnt(8)
	v_cmp_eq_u32_e32 vcc, 1, v100
	s_waitcnt vmcnt(6)
	v_mov_b64_e32 v[6:7], v[18:19]
	scratch_load_dwordx4 v[8:11], off, off offset:228 ; 16-byte Folded Reload
	scratch_load_dwordx4 v[12:15], off, off offset:244 ; 16-byte Folded Reload
	;; [unrolled: 1-line block ×8, first 2 shown]
	v_cndmask_b32_e32 v0, v113, v111, vcc
	v_cmp_eq_u32_e64 s[0:1], 2, v100
	v_cmp_eq_u32_e64 s[2:3], 3, v100
	v_cndmask_b32_e32 v1, v112, v110, vcc
	v_cndmask_b32_e64 v0, v0, v109, s[0:1]
	v_cndmask_b32_e64 v0, v0, v7, s[2:3]
	;; [unrolled: 1-line block ×3, first 2 shown]
	v_cmp_eq_u32_e32 vcc, 4, v100
	v_cndmask_b32_e64 v1, v1, v6, s[2:3]
	v_cmp_eq_u32_e64 s[0:1], 5, v100
	s_waitcnt vmcnt(7)
	v_accvgpr_read_b32 v11, a181
	s_waitcnt vmcnt(5)
	v_mov_b64_e32 v[8:9], v[16:17]
	v_cndmask_b32_e32 v0, v0, v9, vcc
	v_cndmask_b32_e64 v0, v0, v11, s[0:1]
	v_cndmask_b32_e32 v1, v1, v8, vcc
	scratch_load_dwordx4 v[2:5], off, off offset:1380 ; 16-byte Folded Reload
	scratch_load_dwordx4 v[6:9], off, off offset:1396 ; 16-byte Folded Reload
	scratch_load_dwordx4 v[10:13], off, off offset:1412 ; 16-byte Folded Reload
	scratch_load_dwordx4 v[14:17], off, off offset:1428 ; 16-byte Folded Reload
	scratch_load_dwordx4 v[18:21], off, off offset:1444 ; 16-byte Folded Reload
	scratch_load_dwordx4 v[22:25], off, off offset:1460 ; 16-byte Folded Reload
	scratch_load_dwordx4 v[26:29], off, off offset:1476 ; 16-byte Folded Reload
	scratch_load_dwordx4 v[30:33], off, off offset:1492 ; 16-byte Folded Reload
	v_cmp_eq_u32_e32 vcc, 6, v100
	s_waitcnt vmcnt(4)
	s_nop 0
	v_cndmask_b32_e32 v0, v0, v15, vcc
	scratch_load_dwordx4 v[2:5], off, off offset:1764 ; 16-byte Folded Reload
	scratch_load_dwordx4 v[6:9], off, off offset:1780 ; 16-byte Folded Reload
	;; [unrolled: 1-line block ×8, first 2 shown]
	s_waitcnt vmcnt(5)
	v_cndmask_b32_e64 v1, v1, v12, s[0:1]
	scratch_load_dwordx4 v[2:5], off, off offset:2020 ; 16-byte Folded Reload
	scratch_load_dwordx4 v[6:9], off, off offset:2036 ; 16-byte Folded Reload
	;; [unrolled: 1-line block ×8, first 2 shown]
	v_cmp_eq_u32_e64 s[0:1], 7, v100
	s_waitcnt vmcnt(4)
	v_mov_b32_e32 v47, v17
	scratch_load_dwordx4 v[2:5], off, off offset:1636 ; 16-byte Folded Reload
	scratch_load_dwordx4 v[6:9], off, off offset:1652 ; 16-byte Folded Reload
	;; [unrolled: 1-line block ×8, first 2 shown]
	v_cndmask_b32_e64 v0, v0, v47, s[0:1]
	s_waitcnt vmcnt(4)
	v_cndmask_b32_e32 v1, v1, v14, vcc
	scratch_load_dwordx4 v[2:5], off, off offset:1508 ; 16-byte Folded Reload
	scratch_load_dwordx4 v[6:9], off, off offset:1524 ; 16-byte Folded Reload
	;; [unrolled: 1-line block ×8, first 2 shown]
	v_cmp_eq_u32_e32 vcc, 8, v100
	s_waitcnt vmcnt(4)
	v_cndmask_b32_e64 v1, v1, v16, s[0:1]
	scratch_load_dwordx4 v[2:5], off, off offset:1892 ; 16-byte Folded Reload
	scratch_load_dwordx4 v[6:9], off, off offset:1908 ; 16-byte Folded Reload
	;; [unrolled: 1-line block ×8, first 2 shown]
	v_cmp_lt_i32_e64 s[0:1], -1, v100
	s_waitcnt vmcnt(3)
	v_mov_b32_e32 v45, v19
	scratch_load_dwordx4 v[4:7], off, off offset:2148 ; 16-byte Folded Reload
	scratch_load_dwordx4 v[8:11], off, off offset:2164 ; 16-byte Folded Reload
	;; [unrolled: 1-line block ×8, first 2 shown]
	s_waitcnt vmcnt(7)
	v_mov_b64_e32 v[4:5], -1
	v_cndmask_b32_e32 v3, v0, v45, vcc
	v_mov_b64_e32 v[6:7], v[4:5]
	s_waitcnt vmcnt(3)
	v_mov_b32_e32 v44, v20
	v_cndmask_b32_e32 v2, v1, v44, vcc
	v_mov_b64_e32 v[0:1], 0
	s_and_saveexec_b64 s[10:11], s[0:1]
	s_cbranch_execz .LBB2_24
; %bb.21:
	scratch_load_dword v10, off, off offset:96 ; 4-byte Folded Reload
	scratch_load_dwordx4 v[12:15], off, off offset:100 ; 16-byte Folded Reload
	scratch_load_dwordx4 v[16:19], off, off offset:116 ; 16-byte Folded Reload
	;; [unrolled: 1-line block ×16, first 2 shown]
	s_mov_b64 s[12:13], 0
	v_mov_b32_e32 v101, -1
	v_mov_b32_e32 v5, v100
	v_mov_b32_e32 v4, -1
	v_mov_b32_e32 v6, -1
	;; [unrolled: 1-line block ×3, first 2 shown]
	v_mov_b64_e32 v[8:9], v[2:3]
	v_accvgpr_read_b32 v11, a181
	s_waitcnt vmcnt(5)
	v_mov_b64_e32 v[20:21], v[58:59]
	scratch_load_dwordx4 v[50:53], off, off offset:1380 ; 16-byte Folded Reload
	scratch_load_dwordx4 v[54:57], off, off offset:1396 ; 16-byte Folded Reload
	scratch_load_dwordx4 v[58:61], off, off offset:1412 ; 16-byte Folded Reload
	scratch_load_dwordx4 v[62:65], off, off offset:1428 ; 16-byte Folded Reload
	scratch_load_dwordx4 v[66:69], off, off offset:1444 ; 16-byte Folded Reload
	scratch_load_dwordx4 v[70:73], off, off offset:1460 ; 16-byte Folded Reload
	scratch_load_dwordx4 v[74:77], off, off offset:1476 ; 16-byte Folded Reload
	scratch_load_dwordx4 v[78:81], off, off offset:1492 ; 16-byte Folded Reload
	s_waitcnt vmcnt(4)
	v_mov_b32_e32 v15, v63
	scratch_load_dwordx4 v[50:53], off, off offset:1508 ; 16-byte Folded Reload
	scratch_load_dwordx4 v[54:57], off, off offset:1524 ; 16-byte Folded Reload
	scratch_load_dwordx4 v[58:61], off, off offset:1540 ; 16-byte Folded Reload
	scratch_load_dwordx4 v[62:65], off, off offset:1556 ; 16-byte Folded Reload
	scratch_load_dwordx4 v[66:69], off, off offset:1572 ; 16-byte Folded Reload
	scratch_load_dwordx4 v[70:73], off, off offset:1588 ; 16-byte Folded Reload
	scratch_load_dwordx4 v[74:77], off, off offset:1604 ; 16-byte Folded Reload
	scratch_load_dwordx4 v[78:81], off, off offset:1620 ; 16-byte Folded Reload
	s_waitcnt vmcnt(4)
	v_mov_b32_e32 v14, v64
	;; [unrolled: 10-line block ×4, first 2 shown]
.LBB2_22:                               ; =>This Inner Loop Header: Depth=1
	v_lshl_add_u32 v0, v5, 2, v10
	scratch_load_dword v7, v0, off
	s_waitcnt vmcnt(0)
	v_cmp_gt_i32_e32 vcc, 0, v7
	s_nop 1
	v_cndmask_b32_e32 v13, v7, v100, vcc
	v_cmp_eq_u32_e64 s[2:3], 1, v13
	v_cmp_eq_u32_e64 s[4:5], 2, v13
	;; [unrolled: 1-line block ×3, first 2 shown]
	v_cndmask_b32_e64 v0, v113, v111, s[2:3]
	v_cndmask_b32_e64 v1, v112, v110, s[2:3]
	;; [unrolled: 1-line block ×5, first 2 shown]
	v_cmp_eq_u32_e64 s[2:3], 4, v13
	v_cndmask_b32_e64 v1, v1, v18, s[6:7]
	v_cmp_eq_u32_e64 s[4:5], 5, v13
	v_cndmask_b32_e64 v0, v0, v21, s[2:3]
	v_cndmask_b32_e64 v1, v1, v20, s[2:3]
	;; [unrolled: 1-line block ×3, first 2 shown]
	v_cmp_eq_u32_e64 s[2:3], 6, v13
	v_cndmask_b32_e64 v1, v1, v22, s[4:5]
	v_cmp_eq_u32_e64 s[4:5], 7, v13
	v_cndmask_b32_e64 v0, v0, v15, s[2:3]
	v_cndmask_b32_e64 v1, v1, v12, s[2:3]
	;; [unrolled: 1-line block ×4, first 2 shown]
	v_cmp_eq_u32_e64 s[2:3], 8, v13
	s_nop 1
	v_cndmask_b32_e64 v17, v0, v45, s[2:3]
	v_cndmask_b32_e64 v16, v1, v44, s[2:3]
	v_mov_b64_e32 v[0:1], v[8:9]
	v_cmp_le_f64_e64 s[2:3], 0, v[0:1]
	v_cmp_gt_f64_e64 s[4:5], 0, v[0:1]
	v_cmp_gt_f64_e64 s[6:7], 0, v[16:17]
	v_cmp_le_f64_e64 s[8:9], 0, v[16:17]
	s_and_b64 s[2:3], s[2:3], s[6:7]
	s_and_b64 s[4:5], s[4:5], s[8:9]
	v_cndmask_b32_e64 v6, v6, v13, s[2:3]
	v_cndmask_b32_e64 v102, v102, v13, s[4:5]
	;; [unrolled: 1-line block ×4, first 2 shown]
	s_or_b64 s[12:13], vcc, s[12:13]
	v_mov_b32_e32 v5, v7
	v_mov_b64_e32 v[8:9], v[16:17]
	s_andn2_b64 exec, exec, s[12:13]
	s_cbranch_execnz .LBB2_22
; %bb.23:
	s_or_b64 exec, exec, s[12:13]
.LBB2_24:
	s_or_b64 exec, exec, s[10:11]
	v_cmp_lt_i32_e64 s[2:3], -1, v101
	v_mov_b32_e32 v8, -1
	v_mov_b32_e32 v103, -1
	;; [unrolled: 1-line block ×3, first 2 shown]
	s_and_saveexec_b64 s[52:53], s[2:3]
	s_cbranch_execz .LBB2_26
; %bb.25:
	scratch_load_dwordx4 v[12:15], off, off offset:100 ; 16-byte Folded Reload
	scratch_load_dwordx4 v[16:19], off, off offset:116 ; 16-byte Folded Reload
	;; [unrolled: 1-line block ×16, first 2 shown]
	v_cmp_eq_u32_e64 s[4:5], 1, v6
	v_cmp_eq_u32_e64 s[6:7], 2, v6
	;; [unrolled: 1-line block ×3, first 2 shown]
	v_cndmask_b32_e64 v5, v113, v111, s[4:5]
	v_cndmask_b32_e64 v5, v5, v109, s[6:7]
	v_cmp_eq_u32_e64 s[10:11], 4, v6
	v_cmp_eq_u32_e64 s[12:13], 5, v6
	v_accvgpr_read_b32 v11, a181
	v_cmp_eq_u32_e64 s[14:15], 6, v6
	v_cmp_eq_u32_e64 s[16:17], 7, v6
	;; [unrolled: 1-line block ×4, first 2 shown]
	v_cndmask_b32_e64 v6, v112, v110, s[4:5]
	v_cmp_eq_u32_e64 s[22:23], 2, v101
	v_cndmask_b32_e64 v9, v112, v110, s[20:21]
	v_cndmask_b32_e64 v6, v6, v108, s[6:7]
	v_cmp_eq_u32_e64 s[24:25], 3, v101
	v_cndmask_b32_e64 v9, v9, v108, s[22:23]
	v_cmp_eq_u32_e64 s[26:27], 4, v101
	v_cmp_eq_u32_e64 s[28:29], 5, v101
	;; [unrolled: 1-line block ×5, first 2 shown]
	v_accvgpr_read_b32 v99, a157
	s_waitcnt vmcnt(9)
	v_mov_b64_e32 v[38:39], v[18:19]
	s_waitcnt vmcnt(5)
	v_mov_b64_e32 v[42:43], v[58:59]
	scratch_load_dwordx4 v[50:53], off, off offset:1380 ; 16-byte Folded Reload
	scratch_load_dwordx4 v[54:57], off, off offset:1396 ; 16-byte Folded Reload
	;; [unrolled: 1-line block ×8, first 2 shown]
	v_cndmask_b32_e64 v5, v5, v39, s[8:9]
	v_cndmask_b32_e64 v5, v5, v43, s[10:11]
	v_cndmask_b32_e64 v5, v5, v11, s[12:13]
	v_cndmask_b32_e64 v6, v6, v38, s[8:9]
	v_cndmask_b32_e64 v9, v9, v38, s[24:25]
	v_cndmask_b32_e64 v6, v6, v42, s[10:11]
	v_cndmask_b32_e64 v9, v9, v42, s[26:27]
	s_waitcnt vmcnt(4)
	v_mov_b32_e32 v45, v63
	scratch_load_dwordx4 v[50:53], off, off offset:2020 ; 16-byte Folded Reload
	scratch_load_dwordx4 v[54:57], off, off offset:2036 ; 16-byte Folded Reload
	scratch_load_dwordx4 v[58:61], off, off offset:2052 ; 16-byte Folded Reload
	scratch_load_dwordx4 v[62:65], off, off offset:2068 ; 16-byte Folded Reload
	scratch_load_dwordx4 v[66:69], off, off offset:2084 ; 16-byte Folded Reload
	scratch_load_dwordx4 v[70:73], off, off offset:2100 ; 16-byte Folded Reload
	scratch_load_dwordx4 v[74:77], off, off offset:2116 ; 16-byte Folded Reload
	scratch_load_dwordx4 v[78:81], off, off offset:2132 ; 16-byte Folded Reload
	v_cndmask_b32_e64 v5, v5, v45, s[14:15]
	s_waitcnt vmcnt(4)
	v_mov_b32_e32 v41, v65
	scratch_load_dwordx4 v[50:53], off, off offset:1764 ; 16-byte Folded Reload
	scratch_load_dwordx4 v[54:57], off, off offset:1780 ; 16-byte Folded Reload
	scratch_load_dwordx4 v[58:61], off, off offset:1796 ; 16-byte Folded Reload
	scratch_load_dwordx4 v[62:65], off, off offset:1812 ; 16-byte Folded Reload
	scratch_load_dwordx4 v[66:69], off, off offset:1828 ; 16-byte Folded Reload
	scratch_load_dwordx4 v[70:73], off, off offset:1844 ; 16-byte Folded Reload
	scratch_load_dwordx4 v[74:77], off, off offset:1860 ; 16-byte Folded Reload
	scratch_load_dwordx4 v[78:81], off, off offset:1876 ; 16-byte Folded Reload
	v_cndmask_b32_e64 v5, v5, v41, s[16:17]
	;; [unrolled: 11-line block ×3, first 2 shown]
	v_cndmask_b32_e64 v9, v9, v10, s[28:29]
	s_waitcnt vmcnt(4)
	v_mov_b32_e32 v12, v62
	scratch_load_dwordx4 v[50:53], off, off offset:1508 ; 16-byte Folded Reload
	scratch_load_dwordx4 v[54:57], off, off offset:1524 ; 16-byte Folded Reload
	;; [unrolled: 1-line block ×8, first 2 shown]
	v_cndmask_b32_e64 v6, v6, v12, s[14:15]
	v_cndmask_b32_e64 v9, v9, v12, s[30:31]
	s_waitcnt vmcnt(4)
	v_mov_b32_e32 v14, v64
	scratch_load_dwordx4 v[50:53], off, off offset:1892 ; 16-byte Folded Reload
	scratch_load_dwordx4 v[54:57], off, off offset:1908 ; 16-byte Folded Reload
	;; [unrolled: 1-line block ×8, first 2 shown]
	v_cndmask_b32_e64 v6, v6, v14, s[16:17]
	v_cndmask_b32_e64 v9, v9, v14, s[34:35]
	s_waitcnt vmcnt(3)
	v_mov_b32_e32 v33, v67
	scratch_load_dwordx4 v[50:53], off, off offset:2148 ; 16-byte Folded Reload
	scratch_load_dwordx4 v[54:57], off, off offset:2164 ; 16-byte Folded Reload
	;; [unrolled: 1-line block ×8, first 2 shown]
	scratch_load_dword v103, off, off offset:84
	v_cndmask_b32_e64 v7, v5, v33, s[18:19]
	v_cndmask_b32_e64 v5, v113, v111, s[20:21]
	;; [unrolled: 1-line block ×13, first 2 shown]
	s_waitcnt vmcnt(4)
	v_mov_b32_e32 v32, v66
	scratch_load_dwordx4 v[52:55], off, off offset:1252 ; 16-byte Folded Reload
	scratch_load_dwordx4 v[56:59], off, off offset:1268 ; 16-byte Folded Reload
	;; [unrolled: 1-line block ×8, first 2 shown]
	v_cndmask_b32_e64 v6, v6, v32, s[18:19]
	v_cndmask_b32_e64 v16, v9, v32, s[38:39]
	v_add_f64 v[18:19], -v[6:7], 0
	v_add_f64 v[20:21], v[16:17], -v[6:7]
	v_div_scale_f64 v[22:23], s[36:37], v[20:21], v[20:21], v[18:19]
	v_rcp_f64_e32 v[24:25], v[22:23]
	s_waitcnt vmcnt(8)
	v_cmp_eq_u32_e64 s[44:45], 6, v103
	v_cmp_eq_u32_e64 s[46:47], 5, v103
	;; [unrolled: 1-line block ×3, first 2 shown]
	v_fma_f64 v[26:27], -v[22:23], v[24:25], 1.0
	v_fmac_f64_e32 v[24:25], v[24:25], v[26:27]
	v_fma_f64 v[26:27], -v[22:23], v[24:25], 1.0
	v_fmac_f64_e32 v[24:25], v[24:25], v[26:27]
	v_div_scale_f64 v[26:27], vcc, v[18:19], v[20:21], v[18:19]
	v_mul_f64 v[28:29], v[26:27], v[24:25]
	v_fma_f64 v[22:23], -v[22:23], v[28:29], v[26:27]
	v_accvgpr_read_b32 v26, a34
	s_nop 0
	v_div_fmas_f64 v[22:23], v[22:23], v[24:25], v[28:29]
	v_div_fixup_f64 v[30:31], v[22:23], v[20:21], v[18:19]
	v_add_f64 v[34:35], -v[30:31], 1.0
	v_mul_f64 v[36:37], v[6:7], v[34:35]
	v_fmac_f64_e32 v[36:37], v[16:17], v[30:31]
	v_cndmask_b32_e64 v17, v45, v37, s[44:45]
	v_cmp_eq_u32_e32 vcc, 4, v103
	v_cndmask_b32_e64 v15, v10, v36, s[46:47]
	v_cndmask_b32_e64 v13, v12, v36, s[44:45]
	v_cndmask_b32_e32 v46, v43, v37, vcc
	v_cndmask_b32_e64 v19, v178, v116, s[20:21]
	v_cndmask_b32_e64 v19, v19, v114, s[22:23]
	;; [unrolled: 1-line block ×6, first 2 shown]
	v_cmp_eq_u32_e64 s[42:43], 7, v103
	v_cmp_eq_u32_e64 s[40:41], 8, v103
	v_cndmask_b32_e32 v29, v42, v36, vcc
	v_cndmask_b32_e64 v16, v11, v37, s[46:47]
	v_accvgpr_read_b32 v11, a169
	v_cndmask_b32_e64 v9, v14, v36, s[42:43]
	v_accvgpr_read_b32 v14, a222
	v_cndmask_b32_e64 v6, v32, v36, s[40:41]
	v_cndmask_b32_e64 v20, v33, v37, s[40:41]
	v_accvgpr_read_b32 v33, a17
	v_accvgpr_read_b32 v32, a206
	v_cndmask_b32_e64 v18, v41, v37, s[42:43]
	s_waitcnt vmcnt(5)
	v_mov_b32_e32 v51, v63
	scratch_load_dwordx4 v[52:55], off, off offset:996 ; 16-byte Folded Reload
	scratch_load_dwordx4 v[56:59], off, off offset:1012 ; 16-byte Folded Reload
	scratch_load_dwordx4 v[60:63], off, off offset:1028 ; 16-byte Folded Reload
	scratch_load_dwordx4 v[64:67], off, off offset:1044 ; 16-byte Folded Reload
	scratch_load_dwordx4 v[68:71], off, off offset:1060 ; 16-byte Folded Reload
	scratch_load_dwordx4 v[72:75], off, off offset:1076 ; 16-byte Folded Reload
	scratch_load_dwordx4 v[76:79], off, off offset:1092 ; 16-byte Folded Reload
	scratch_load_dwordx4 v[80:83], off, off offset:1108 ; 16-byte Folded Reload
	v_cndmask_b32_e64 v5, v5, v51, s[28:29]
	s_waitcnt vmcnt(4)
	v_mov_b32_e32 v45, v65
	scratch_load_dwordx4 v[52:55], off, off offset:1124 ; 16-byte Folded Reload
	scratch_load_dwordx4 v[56:59], off, off offset:1140 ; 16-byte Folded Reload
	scratch_load_dwordx4 v[60:63], off, off offset:1156 ; 16-byte Folded Reload
	scratch_load_dwordx4 v[64:67], off, off offset:1172 ; 16-byte Folded Reload
	scratch_load_dwordx4 v[68:71], off, off offset:1188 ; 16-byte Folded Reload
	scratch_load_dwordx4 v[72:75], off, off offset:1204 ; 16-byte Folded Reload
	scratch_load_dwordx4 v[76:79], off, off offset:1220 ; 16-byte Folded Reload
	scratch_load_dwordx4 v[80:83], off, off offset:1236 ; 16-byte Folded Reload
	;; [unrolled: 11-line block ×5, first 2 shown]
	v_cndmask_b32_e64 v19, v19, v12, s[30:31]
	v_cndmask_b32_e64 v19, v19, v212, s[34:35]
	;; [unrolled: 1-line block ×14, first 2 shown]
	s_waitcnt vmcnt(5)
	v_accvgpr_read_b32 v63, a123
	v_cndmask_b32_e64 v19, v19, v84, s[26:27]
	v_accvgpr_read_b32 v61, a111
	v_cndmask_b32_e64 v19, v19, v152, s[28:29]
	v_accvgpr_read_b32 v59, a97
	v_accvgpr_read_b32 v56, a64
	s_waitcnt vmcnt(3)
	v_mov_b32_e32 v27, v69
	v_cndmask_b32_e64 v23, v5, v27, s[38:39]
	v_cndmask_b32_e64 v5, v179, v117, s[4:5]
	;; [unrolled: 1-line block ×9, first 2 shown]
	v_mul_f64 v[38:39], v[24:25], v[34:35]
	v_fmac_f64_e32 v[38:39], v[22:23], v[30:31]
	v_cndmask_b32_e64 v23, v212, v38, s[42:43]
	scratch_load_dwordx4 v[198:201], off, off offset:484 ; 16-byte Folded Reload
	scratch_load_dwordx4 v[202:205], off, off offset:500 ; 16-byte Folded Reload
	;; [unrolled: 1-line block ×8, first 2 shown]
	v_cndmask_b32_e64 v5, v185, v255, s[20:21]
	v_cndmask_b32_e64 v5, v5, v181, s[22:23]
	;; [unrolled: 1-line block ×12, first 2 shown]
	v_cndmask_b32_e32 v51, v94, v38, vcc
	v_cndmask_b32_e32 v52, v95, v39, vcc
	v_cndmask_b32_e64 v22, v12, v38, s[44:45]
	v_accvgpr_read_b32 v12, a236
	v_cndmask_b32_e64 v48, v48, v38, s[36:37]
	v_cndmask_b32_e64 v49, v49, v39, s[36:37]
	;; [unrolled: 1-line block ×3, first 2 shown]
	s_waitcnt vmcnt(4)
	v_mov_b32_e32 v58, v210
	scratch_load_dwordx4 v[198:201], off, off offset:356 ; 16-byte Folded Reload
	scratch_load_dwordx4 v[202:205], off, off offset:372 ; 16-byte Folded Reload
	;; [unrolled: 1-line block ×8, first 2 shown]
	v_cndmask_b32_e64 v19, v19, v58, s[30:31]
	v_cndmask_b32_e64 v19, v19, v56, s[34:35]
	s_waitcnt vmcnt(3)
	v_mov_b32_e32 v57, v215
	scratch_load_dwordx4 v[198:201], off, off offset:612 ; 16-byte Folded Reload
	scratch_load_dwordx4 v[202:205], off, off offset:628 ; 16-byte Folded Reload
	;; [unrolled: 1-line block ×8, first 2 shown]
	v_cndmask_b32_e64 v43, v5, v57, s[38:39]
	v_cndmask_b32_e64 v5, v185, v255, s[4:5]
	;; [unrolled: 1-line block ×15, first 2 shown]
	s_waitcnt vmcnt(3)
	v_mov_b32_e32 v54, v214
	v_cndmask_b32_e64 v42, v19, v54, s[38:39]
	v_cndmask_b32_e64 v19, v184, v254, s[4:5]
	;; [unrolled: 1-line block ×9, first 2 shown]
	v_mul_f64 v[44:45], v[44:45], v[34:35]
	v_fmac_f64_e32 v[44:45], v[42:43], v[30:31]
	v_cndmask_b32_e64 v55, v58, v44, s[44:45]
	v_cndmask_b32_e64 v58, v59, v45, s[42:43]
	;; [unrolled: 1-line block ×3, first 2 shown]
	v_cndmask_b32_e32 v61, v84, v44, vcc
	v_cndmask_b32_e32 v62, v85, v45, vcc
	scratch_load_dwordx4 v[66:69], off, off offset:2284 ; 16-byte Folded Reload
	scratch_load_dwordx4 v[70:73], off, off offset:2300 ; 16-byte Folded Reload
	;; [unrolled: 1-line block ×8, first 2 shown]
	v_cndmask_b32_e64 v19, v188, v174, s[4:5]
	v_cndmask_b32_e64 v19, v19, v182, s[6:7]
	;; [unrolled: 1-line block ×15, first 2 shown]
	v_cmp_eq_u32_e64 s[4:5], 2, v103
	v_cndmask_b32_e64 v60, v63, v45, s[46:47]
	v_cndmask_b32_e64 v63, v126, v44, s[36:37]
	s_waitcnt vmcnt(5)
	v_cndmask_b32_e64 v77, v109, v37, s[4:5]
	v_cndmask_b32_e64 v64, v127, v45, s[36:37]
	;; [unrolled: 1-line block ×6, first 2 shown]
	s_waitcnt vmcnt(4)
	v_cndmask_b32_e64 v80, v114, v38, s[4:5]
	s_waitcnt vmcnt(3)
	v_cndmask_b32_e64 v83, v115, v39, s[4:5]
	;; [unrolled: 2-line block ×3, first 2 shown]
	v_cndmask_b32_e64 v88, v181, v45, s[4:5]
	v_cmp_eq_u32_e64 s[6:7], 2, v4
	v_cmp_eq_u32_e64 s[8:9], 3, v4
	;; [unrolled: 1-line block ×5, first 2 shown]
	v_cndmask_b32_e64 v56, v152, v44, s[46:47]
	v_mov_b32_e32 v43, v81
	v_cndmask_b32_e64 v5, v5, v43, s[16:17]
	v_cndmask_b32_e64 v41, v5, v33, s[18:19]
	;; [unrolled: 1-line block ×9, first 2 shown]
	v_mul_f64 v[34:35], v[40:41], v[34:35]
	v_cndmask_b32_e64 v41, v5, v33, s[38:39]
	v_cndmask_b32_e64 v40, v19, v32, s[38:39]
	v_fmac_f64_e32 v[34:35], v[40:41], v[30:31]
	v_lshlrev_b32_e32 v5, 2, v103
	v_mov_b32_e32 v30, 0
	v_add3_u32 v5, v30, v5, 40
	scratch_load_dword v104, v5, off
	v_cmp_eq_u32_e64 s[24:25], 1, v103
	v_cmp_eq_u32_e64 s[28:29], 0, v103
	;; [unrolled: 1-line block ×3, first 2 shown]
	v_cndmask_b32_e64 v78, v111, v37, s[24:25]
	v_cndmask_b32_e64 v79, v113, v37, s[28:29]
	;; [unrolled: 1-line block ×4, first 2 shown]
	v_cmp_eq_u32_e64 s[22:23], 2, v102
	v_cmp_eq_u32_e64 s[26:27], 3, v102
	;; [unrolled: 1-line block ×3, first 2 shown]
	v_cndmask_b32_e64 v32, v32, v77, s[22:23]
	v_cndmask_b32_e64 v32, v32, v50, s[26:27]
	;; [unrolled: 1-line block ×5, first 2 shown]
	v_cmp_eq_u32_e64 s[36:37], 5, v102
	v_cndmask_b32_e64 v68, v33, v35, s[40:41]
	v_cmp_eq_u32_e64 s[40:41], 6, v102
	v_cndmask_b32_e64 v32, v32, v16, s[36:37]
	v_cndmask_b32_e64 v14, v14, v34, s[42:43]
	;; [unrolled: 1-line block ×4, first 2 shown]
	v_cmp_eq_u32_e64 s[42:43], 7, v102
	v_cndmask_b32_e64 v66, v12, v34, s[44:45]
	v_cndmask_b32_e64 v70, v99, v35, s[44:45]
	;; [unrolled: 1-line block ×4, first 2 shown]
	s_waitcnt vmcnt(2)
	v_cndmask_b32_e64 v91, v182, v34, s[4:5]
	s_waitcnt vmcnt(1)
	v_cndmask_b32_e64 v97, v183, v35, s[4:5]
	v_cmp_eq_u32_e64 s[4:5], 1, v4
	v_cndmask_b32_e64 v32, v32, v18, s[42:43]
	v_cmp_eq_u32_e64 s[44:45], 8, v102
	v_cmp_eq_u32_e64 s[16:17], 7, v4
	;; [unrolled: 1-line block ×3, first 2 shown]
	v_cndmask_b32_e64 v4, v76, v73, s[4:5]
	v_cndmask_b32_e64 v33, v32, v20, s[44:45]
	;; [unrolled: 1-line block ×23, first 2 shown]
	v_cndmask_b32_e32 v90, v118, v34, vcc
	v_cndmask_b32_e64 v92, v174, v34, s[24:25]
	v_cndmask_b32_e64 v93, v188, v34, s[28:29]
	v_cndmask_b32_e32 v96, v119, v35, vcc
	v_cndmask_b32_e64 v98, v175, v35, s[24:25]
	v_cndmask_b32_e64 v99, v189, v35, s[28:29]
	;; [unrolled: 1-line block ×6, first 2 shown]
	s_waitcnt vmcnt(0)
	v_lshlrev_b32_e32 v5, 2, v104
	v_add3_u32 v5, v30, v5, 40
	scratch_load_dword v42, v5, off
	v_cndmask_b32_e64 v5, v79, v78, s[4:5]
	v_cndmask_b32_e64 v5, v5, v77, s[6:7]
	v_cndmask_b32_e64 v5, v5, v50, s[8:9]
	v_cndmask_b32_e64 v5, v5, v46, s[10:11]
	v_cndmask_b32_e64 v5, v5, v16, s[12:13]
	v_cndmask_b32_e64 v5, v5, v17, s[14:15]
	v_cndmask_b32_e64 v5, v5, v18, s[16:17]
	v_cndmask_b32_e64 v5, v5, v20, s[18:19]
	v_add_f64 v[30:31], -v[4:5], 0
	v_add_f64 v[36:37], v[32:33], -v[4:5]
	v_div_scale_f64 v[38:39], s[34:35], v[36:37], v[36:37], v[30:31]
	v_rcp_f64_e32 v[40:41], v[38:39]
	v_cmp_eq_u32_e64 s[24:25], 3, v104
	v_cmp_eq_u32_e64 s[28:29], 2, v104
	v_cmp_eq_u32_e64 s[34:35], 1, v104
	v_fma_f64 v[34:35], -v[38:39], v[40:41], 1.0
	v_fmac_f64_e32 v[40:41], v[40:41], v[34:35]
	v_fma_f64 v[34:35], -v[38:39], v[40:41], 1.0
	v_fmac_f64_e32 v[40:41], v[40:41], v[34:35]
	v_div_scale_f64 v[34:35], vcc, v[30:31], v[36:37], v[30:31]
	v_cmp_eq_u32_e64 s[38:39], 0, v104
	s_waitcnt vmcnt(0)
	scratch_store_dword off, v42, off offset:84
	v_mul_f64 v[42:43], v[34:35], v[40:41]
	v_fma_f64 v[34:35], -v[38:39], v[42:43], v[34:35]
	v_div_fmas_f64 v[34:35], v[34:35], v[40:41], v[42:43]
	v_div_fixup_f64 v[30:31], v[34:35], v[36:37], v[30:31]
	v_add_f64 v[34:35], -v[30:31], 1.0
	v_mul_f64 v[4:5], v[4:5], v[34:35]
	v_fmac_f64_e32 v[4:5], v[32:33], v[30:31]
	v_cmp_eq_u32_e32 vcc, 4, v104
	s_nop 1
	v_cndmask_b32_e32 v11, v46, v5, vcc
	v_cndmask_b32_e32 v10, v29, v4, vcc
	scratch_store_dwordx4 off, v[2:5], off offset:228 ; 16-byte Folded Spill
	s_nop 0
	scratch_store_dwordx4 off, v[6:9], off offset:244 ; 16-byte Folded Spill
	scratch_store_dwordx4 off, v[10:13], off offset:260 ; 16-byte Folded Spill
	;; [unrolled: 1-line block ×7, first 2 shown]
	v_cndmask_b32_e64 v11, v50, v5, s[24:25]
	v_cndmask_b32_e64 v10, v47, v4, s[24:25]
	scratch_store_dwordx4 off, v[4:7], off offset:100 ; 16-byte Folded Spill
	s_nop 0
	scratch_store_dwordx4 off, v[8:11], off offset:116 ; 16-byte Folded Spill
	scratch_store_dwordx4 off, v[12:15], off offset:132 ; 16-byte Folded Spill
	scratch_store_dwordx4 off, v[16:19], off offset:148 ; 16-byte Folded Spill
	scratch_store_dwordx4 off, v[20:23], off offset:164 ; 16-byte Folded Spill
	scratch_store_dwordx4 off, v[24:27], off offset:180 ; 16-byte Folded Spill
	scratch_store_dwordx4 off, v[28:31], off offset:196 ; 16-byte Folded Spill
	scratch_store_dwordx4 off, v[32:35], off offset:212 ; 16-byte Folded Spill
	v_cndmask_b32_e64 v109, v77, v5, s[28:29]
	v_cndmask_b32_e64 v29, v85, v84, s[20:21]
	;; [unrolled: 1-line block ×39, first 2 shown]
	v_mul_f64 v[36:37], v[36:37], v[34:35]
	v_cndmask_b32_e64 v29, v29, v58, s[42:43]
	v_fmac_f64_e32 v[36:37], v[32:33], v[30:31]
	v_cndmask_b32_e64 v33, v29, v57, s[44:45]
	v_cndmask_b32_e64 v29, v44, v87, s[20:21]
	;; [unrolled: 1-line block ×31, first 2 shown]
	v_mul_f64 v[38:39], v[38:39], v[34:35]
	v_cndmask_b32_e64 v29, v29, v69, s[42:43]
	v_fmac_f64_e32 v[38:39], v[32:33], v[30:31]
	v_cndmask_b32_e64 v33, v29, v68, s[44:45]
	v_cndmask_b32_e64 v29, v93, v92, s[20:21]
	;; [unrolled: 1-line block ×25, first 2 shown]
	v_cmp_eq_u32_e64 s[8:9], 8, v104
	v_mul_f64 v[34:35], v[40:41], v[34:35]
	v_cndmask_b32_e64 v108, v72, v4, s[28:29]
	v_cndmask_b32_e64 v19, v20, v5, s[8:9]
	;; [unrolled: 1-line block ×6, first 2 shown]
	v_fmac_f64_e32 v[34:35], v[32:33], v[30:31]
	scratch_store_dwordx4 off, v[2:5], off offset:1892 ; 16-byte Folded Spill
	s_nop 0
	scratch_store_dwordx4 off, v[6:9], off offset:1908 ; 16-byte Folded Spill
	scratch_store_dwordx4 off, v[10:13], off offset:1924 ; 16-byte Folded Spill
	;; [unrolled: 1-line block ×7, first 2 shown]
	v_cndmask_b32_e32 v119, v96, v35, vcc
	v_cndmask_b32_e32 v118, v90, v34, vcc
	v_cndmask_b32_e64 v197, v75, v35, s[24:25]
	v_cndmask_b32_e64 v196, v74, v34, s[24:25]
	;; [unrolled: 1-line block ×8, first 2 shown]
	v_cndmask_b32_e32 v95, v52, v37, vcc
	v_cndmask_b32_e32 v94, v51, v36, vcc
	v_cndmask_b32_e64 v117, v84, v37, s[34:35]
	v_cndmask_b32_e64 v179, v85, v37, s[38:39]
	v_cndmask_b32_e32 v85, v62, v39, vcc
	v_cndmask_b32_e32 v84, v61, v38, vcc
	v_cmp_eq_u32_e32 vcc, 7, v104
	v_cmp_eq_u32_e64 s[4:5], 6, v104
	v_cmp_eq_u32_e64 s[6:7], 5, v104
	v_cndmask_b32_e64 v49, v49, v37, s[24:25]
	v_cndmask_b32_e64 v48, v48, v36, s[24:25]
	;; [unrolled: 1-line block ×16, first 2 shown]
	scratch_store_dwordx4 off, v[4:7], off offset:2148 ; 16-byte Folded Spill
	s_nop 0
	scratch_store_dwordx4 off, v[8:11], off offset:2164 ; 16-byte Folded Spill
	scratch_store_dwordx4 off, v[12:15], off offset:2180 ; 16-byte Folded Spill
	;; [unrolled: 1-line block ×7, first 2 shown]
	v_cndmask_b32_e32 v19, v18, v5, vcc
	scratch_store_dwordx4 off, v[4:7], off offset:2020 ; 16-byte Folded Spill
	s_nop 0
	scratch_store_dwordx4 off, v[8:11], off offset:2036 ; 16-byte Folded Spill
	scratch_store_dwordx4 off, v[12:15], off offset:2052 ; 16-byte Folded Spill
	;; [unrolled: 1-line block ×7, first 2 shown]
	v_cndmask_b32_e32 v18, v9, v4, vcc
	scratch_store_dwordx4 off, v[4:7], off offset:1508 ; 16-byte Folded Spill
	s_nop 0
	scratch_store_dwordx4 off, v[8:11], off offset:1524 ; 16-byte Folded Spill
	scratch_store_dwordx4 off, v[12:15], off offset:1540 ; 16-byte Folded Spill
	scratch_store_dwordx4 off, v[16:19], off offset:1556 ; 16-byte Folded Spill
	scratch_store_dwordx4 off, v[20:23], off offset:1572 ; 16-byte Folded Spill
	scratch_store_dwordx4 off, v[24:27], off offset:1588 ; 16-byte Folded Spill
	scratch_store_dwordx4 off, v[28:31], off offset:1604 ; 16-byte Folded Spill
	scratch_store_dwordx4 off, v[32:35], off offset:1620 ; 16-byte Folded Spill
	v_cndmask_b32_e64 v17, v17, v5, s[4:5]
	scratch_store_dwordx4 off, v[4:7], off offset:1380 ; 16-byte Folded Spill
	s_nop 0
	scratch_store_dwordx4 off, v[8:11], off offset:1396 ; 16-byte Folded Spill
	scratch_store_dwordx4 off, v[12:15], off offset:1412 ; 16-byte Folded Spill
	scratch_store_dwordx4 off, v[16:19], off offset:1428 ; 16-byte Folded Spill
	scratch_store_dwordx4 off, v[20:23], off offset:1444 ; 16-byte Folded Spill
	scratch_store_dwordx4 off, v[24:27], off offset:1460 ; 16-byte Folded Spill
	scratch_store_dwordx4 off, v[28:31], off offset:1476 ; 16-byte Folded Spill
	scratch_store_dwordx4 off, v[32:35], off offset:1492 ; 16-byte Folded Spill
	v_cndmask_b32_e64 v12, v13, v4, s[4:5]
	;; [unrolled: 10-line block ×3, first 2 shown]
	v_cndmask_b32_e64 v11, v16, v5, s[6:7]
	v_cndmask_b32_e64 v10, v15, v4, s[6:7]
	v_accvgpr_write_b32 a181, v11
	scratch_store_dwordx4 off, v[0:3], off offset:1764 ; 16-byte Folded Spill
	s_nop 0
	scratch_store_dwordx4 off, v[4:7], off offset:1780 ; 16-byte Folded Spill
	scratch_store_dwordx4 off, v[8:11], off offset:1796 ; 16-byte Folded Spill
	;; [unrolled: 1-line block ×7, first 2 shown]
	v_cndmask_b32_e64 v17, v28, v37, s[8:9]
	scratch_store_dwordx4 off, v[0:3], off offset:740 ; 16-byte Folded Spill
	s_nop 0
	scratch_store_dwordx4 off, v[4:7], off offset:756 ; 16-byte Folded Spill
	scratch_store_dwordx4 off, v[8:11], off offset:772 ; 16-byte Folded Spill
	;; [unrolled: 1-line block ×7, first 2 shown]
	v_cndmask_b32_e64 v16, v24, v36, s[8:9]
	v_cndmask_b32_e32 v15, v27, v37, vcc
	v_accvgpr_write_b32 a34, v16
	scratch_store_dwordx4 off, v[0:3], off offset:1124 ; 16-byte Folded Spill
	s_nop 0
	scratch_store_dwordx4 off, v[4:7], off offset:1140 ; 16-byte Folded Spill
	scratch_store_dwordx4 off, v[8:11], off offset:1156 ; 16-byte Folded Spill
	;; [unrolled: 1-line block ×7, first 2 shown]
	v_cndmask_b32_e64 v13, v26, v37, s[4:5]
	v_cndmask_b32_e32 v212, v23, v36, vcc
	scratch_store_dwordx4 off, v[0:3], off offset:996 ; 16-byte Folded Spill
	s_nop 0
	scratch_store_dwordx4 off, v[4:7], off offset:1012 ; 16-byte Folded Spill
	scratch_store_dwordx4 off, v[8:11], off offset:1028 ; 16-byte Folded Spill
	scratch_store_dwordx4 off, v[12:15], off offset:1044 ; 16-byte Folded Spill
	scratch_store_dwordx4 off, v[16:19], off offset:1060 ; 16-byte Folded Spill
	scratch_store_dwordx4 off, v[20:23], off offset:1076 ; 16-byte Folded Spill
	scratch_store_dwordx4 off, v[24:27], off offset:1092 ; 16-byte Folded Spill
	scratch_store_dwordx4 off, v[28:31], off offset:1108 ; 16-byte Folded Spill
	v_cndmask_b32_e64 v12, v22, v36, s[4:5]
	scratch_store_dwordx4 off, v[0:3], off offset:2572 ; 16-byte Folded Spill
	s_nop 0
	scratch_store_dwordx4 off, v[4:7], off offset:2588 ; 16-byte Folded Spill
	scratch_store_dwordx4 off, v[8:11], off offset:2604 ; 16-byte Folded Spill
	scratch_store_dwordx4 off, v[12:15], off offset:2620 ; 16-byte Folded Spill
	scratch_store_dwordx4 off, v[16:19], off offset:2636 ; 16-byte Folded Spill
	scratch_store_dwordx4 off, v[20:23], off offset:2652 ; 16-byte Folded Spill
	scratch_store_dwordx4 off, v[24:27], off offset:2668 ; 16-byte Folded Spill
	scratch_store_dwordx4 off, v[28:31], off offset:2684 ; 16-byte Folded Spill
	v_cndmask_b32_e64 v11, v25, v37, s[6:7]
	;; [unrolled: 10-line block ×5, first 2 shown]
	scratch_store_dwordx4 off, v[0:3], off offset:612 ; 16-byte Folded Spill
	s_nop 0
	scratch_store_dwordx4 off, v[4:7], off offset:628 ; 16-byte Folded Spill
	scratch_store_dwordx4 off, v[8:11], off offset:644 ; 16-byte Folded Spill
	;; [unrolled: 1-line block ×7, first 2 shown]
	v_cndmask_b32_e32 v15, v58, v39, vcc
	v_cndmask_b32_e32 v16, v54, v38, vcc
	v_cndmask_b32_e64 v13, v59, v39, s[4:5]
	v_cndmask_b32_e64 v12, v55, v38, s[4:5]
	v_accvgpr_write_b32 a97, v15
	v_accvgpr_write_b32 a64, v16
	;; [unrolled: 1-line block ×3, first 2 shown]
	scratch_store_dwordx4 off, v[0:3], off offset:484 ; 16-byte Folded Spill
	s_nop 0
	scratch_store_dwordx4 off, v[4:7], off offset:500 ; 16-byte Folded Spill
	scratch_store_dwordx4 off, v[8:11], off offset:516 ; 16-byte Folded Spill
	;; [unrolled: 1-line block ×7, first 2 shown]
	v_cndmask_b32_e64 v13, v60, v39, s[6:7]
	v_cndmask_b32_e64 v17, v68, v35, s[8:9]
	;; [unrolled: 1-line block ×3, first 2 shown]
	v_cndmask_b32_e32 v15, v69, v35, vcc
	v_accvgpr_write_b32 a123, v13
	v_accvgpr_write_b32 a17, v17
	;; [unrolled: 1-line block ×3, first 2 shown]
	scratch_store_dwordx4 off, v[0:3], off offset:2284 ; 16-byte Folded Spill
	s_nop 0
	scratch_store_dwordx4 off, v[4:7], off offset:2300 ; 16-byte Folded Spill
	scratch_store_dwordx4 off, v[8:11], off offset:2316 ; 16-byte Folded Spill
	;; [unrolled: 1-line block ×7, first 2 shown]
	v_cndmask_b32_e64 v13, v70, v35, s[4:5]
	v_cndmask_b32_e64 v12, v66, v34, s[4:5]
	v_cndmask_b32_e64 v11, v71, v35, s[6:7]
	v_accvgpr_write_b32 a157, v13
	v_accvgpr_write_b32 a236, v12
	;; [unrolled: 1-line block ×3, first 2 shown]
	v_cndmask_b32_e32 v14, v14, v34, vcc
	v_accvgpr_write_b32 a222, v14
.LBB2_26:
	s_or_b64 exec, exec, s[52:53]
	s_mov_b64 s[4:5], 0
	scratch_store_dword off, v8, off offset:80
	s_mov_b64 s[16:17], exec
	scratch_load_dword v40, off, off offset:96 ; 4-byte Folded Reload
	scratch_load_dwordx4 v[4:7], off, off offset:2572 ; 16-byte Folded Reload
	scratch_load_dwordx4 v[8:11], off, off offset:2588 ; 16-byte Folded Reload
	;; [unrolled: 1-line block ×8, first 2 shown]
	s_and_b64 s[0:1], s[16:17], s[0:1]
	s_waitcnt vmcnt(4)
	v_mov_b32_e32 v36, v16
	s_mov_b64 exec, s[0:1]
	s_cbranch_execz .LBB2_36
; %bb.27:
	s_mov_b64 s[18:19], 0
	v_cmp_gt_f64_e32 vcc, 0, v[2:3]
	s_branch .LBB2_29
.LBB2_28:                               ;   in Loop: Header=BB2_29 Depth=1
	s_or_b64 exec, exec, s[0:1]
	s_waitcnt vmcnt(0)
	v_cmp_gt_i32_e64 s[0:1], 0, v2
	s_or_b64 s[18:19], s[0:1], s[18:19]
	v_mov_b32_e32 v100, v2
	s_andn2_b64 exec, exec, s[18:19]
	s_cbranch_execz .LBB2_35
.LBB2_29:                               ; =>This Inner Loop Header: Depth=1
	v_cmp_eq_u32_e64 s[0:1], 1, v100
	v_cmp_eq_u32_e64 s[4:5], 2, v100
	;; [unrolled: 1-line block ×3, first 2 shown]
	v_cndmask_b32_e64 v2, v113, v111, s[0:1]
	s_waitcnt vmcnt(0)
	v_cndmask_b32_e64 v34, v2, v109, s[4:5]
	scratch_load_dwordx4 v[2:5], off, off offset:100 ; 16-byte Folded Reload
	scratch_load_dwordx4 v[6:9], off, off offset:116 ; 16-byte Folded Reload
	;; [unrolled: 1-line block ×16, first 2 shown]
	v_cmp_eq_u32_e64 s[8:9], 4, v100
	s_waitcnt vmcnt(15)
	v_cndmask_b32_e64 v3, v112, v110, s[0:1]
	v_cmp_eq_u32_e64 s[10:11], 5, v100
	s_waitcnt vmcnt(13)
	v_accvgpr_read_b32 v11, a181
	v_cndmask_b32_e64 v3, v3, v108, s[4:5]
	v_cmp_eq_u32_e64 s[12:13], 6, v100
	v_cmp_eq_u32_e64 s[14:15], 7, v100
	;; [unrolled: 1-line block ×3, first 2 shown]
	s_mov_b64 s[4:5], 0
	v_cndmask_b32_e64 v2, v34, v9, s[6:7]
	s_waitcnt vmcnt(5)
	v_mov_b64_e32 v[20:21], v[58:59]
	scratch_load_dwordx4 v[50:53], off, off offset:1380 ; 16-byte Folded Reload
	scratch_load_dwordx4 v[54:57], off, off offset:1396 ; 16-byte Folded Reload
	scratch_load_dwordx4 v[58:61], off, off offset:1412 ; 16-byte Folded Reload
	scratch_load_dwordx4 v[62:65], off, off offset:1428 ; 16-byte Folded Reload
	scratch_load_dwordx4 v[66:69], off, off offset:1444 ; 16-byte Folded Reload
	scratch_load_dwordx4 v[70:73], off, off offset:1460 ; 16-byte Folded Reload
	scratch_load_dwordx4 v[74:77], off, off offset:1476 ; 16-byte Folded Reload
	scratch_load_dwordx4 v[78:81], off, off offset:1492 ; 16-byte Folded Reload
	v_cndmask_b32_e64 v2, v2, v21, s[8:9]
	v_cndmask_b32_e64 v2, v2, v11, s[10:11]
	;; [unrolled: 1-line block ×4, first 2 shown]
	s_waitcnt vmcnt(4)
	v_cndmask_b32_e64 v2, v2, v63, s[12:13]
	scratch_load_dwordx4 v[50:53], off, off offset:2020 ; 16-byte Folded Reload
	scratch_load_dwordx4 v[54:57], off, off offset:2036 ; 16-byte Folded Reload
	;; [unrolled: 1-line block ×16, first 2 shown]
	s_waitcnt vmcnt(12)
	v_cndmask_b32_e64 v2, v2, v65, s[14:15]
	s_waitcnt vmcnt(5)
	v_cndmask_b32_e64 v3, v3, v14, s[10:11]
	scratch_load_dwordx4 v[4:7], off, off offset:1636 ; 16-byte Folded Reload
	scratch_load_dwordx4 v[8:11], off, off offset:1652 ; 16-byte Folded Reload
	;; [unrolled: 1-line block ×8, first 2 shown]
	s_waitcnt vmcnt(4)
	v_cndmask_b32_e64 v3, v3, v16, s[12:13]
	scratch_load_dwordx4 v[4:7], off, off offset:1508 ; 16-byte Folded Reload
	scratch_load_dwordx4 v[8:11], off, off offset:1524 ; 16-byte Folded Reload
	;; [unrolled: 1-line block ×16, first 2 shown]
	s_waitcnt vmcnt(12)
	v_cndmask_b32_e64 v4, v3, v18, s[14:15]
	s_waitcnt vmcnt(3)
	v_cndmask_b32_e64 v3, v2, v67, s[0:1]
	scratch_load_dwordx4 v[50:53], off, off offset:2148 ; 16-byte Folded Reload
	scratch_load_dwordx4 v[54:57], off, off offset:2164 ; 16-byte Folded Reload
	;; [unrolled: 1-line block ×8, first 2 shown]
	s_waitcnt vmcnt(3)
	v_cndmask_b32_e64 v2, v4, v66, s[0:1]
	v_lshl_add_u32 v4, v100, 2, v40
	v_cmp_ngt_f64_e64 s[0:1], 0, v[2:3]
	scratch_load_dword v2, v4, off
                                        ; implicit-def: $vgpr3
	s_and_saveexec_b64 s[6:7], s[0:1]
	s_xor_b64 s[6:7], exec, s[6:7]
	s_cbranch_execnz .LBB2_32
; %bb.30:                               ;   in Loop: Header=BB2_29 Depth=1
	s_andn2_saveexec_b64 s[0:1], s[6:7]
	s_cbranch_execnz .LBB2_33
.LBB2_31:                               ;   in Loop: Header=BB2_29 Depth=1
	s_or_b64 exec, exec, s[0:1]
	s_and_saveexec_b64 s[0:1], s[4:5]
	s_cbranch_execz .LBB2_28
	s_branch .LBB2_34
.LBB2_32:                               ;   in Loop: Header=BB2_29 Depth=1
	scratch_load_dword v3, off, off offset:80
                                        ; implicit-def: $vgpr4
	s_waitcnt vmcnt(0)
	v_cmp_eq_u32_e64 s[0:1], -1, v3
	v_mov_b32_e32 v3, 0x50
	s_and_b64 s[4:5], s[0:1], exec
	s_andn2_saveexec_b64 s[0:1], s[6:7]
	s_cbranch_execz .LBB2_31
.LBB2_33:                               ;   in Loop: Header=BB2_29 Depth=1
	scratch_load_dword v5, off, off offset:84
	v_mov_b32_e32 v3, 0x54
	s_or_b64 s[4:5], s[4:5], exec
	s_waitcnt vmcnt(0)
	scratch_store_dword v4, v5, off
	s_or_b64 exec, exec, s[0:1]
	s_and_saveexec_b64 s[0:1], s[4:5]
	s_cbranch_execz .LBB2_28
.LBB2_34:                               ;   in Loop: Header=BB2_29 Depth=1
	scratch_store_dword v3, v100, off
	s_branch .LBB2_28
.LBB2_35:
	s_or_b64 exec, exec, s[18:19]
	s_and_b64 s[4:5], vcc, exec
.LBB2_36:
	s_or_b64 exec, exec, s[16:17]
	s_and_saveexec_b64 s[0:1], s[2:3]
	s_cbranch_execz .LBB2_38
; %bb.37:
	v_lshlrev_b32_e32 v2, 2, v104
	v_mov_b32_e32 v3, 0
	v_cmp_gt_f64_e32 vcc, 0, v[0:1]
	v_lshlrev_b32_e32 v1, 2, v103
	v_lshlrev_b32_e32 v4, 2, v101
	v_add3_u32 v2, v3, v2, 40
	s_or_b64 s[2:3], vcc, s[4:5]
	v_add3_u32 v1, v3, v1, 40
	v_add3_u32 v3, v3, v4, 40
	v_cndmask_b32_e64 v0, v102, -1, s[2:3]
	scratch_store_dword v3, v103, off
	scratch_store_dword v1, v104, off
	;; [unrolled: 1-line block ×3, first 2 shown]
.LBB2_38:
	s_or_b64 exec, exec, s[0:1]
	scratch_load_dword v10, off, off offset:80
	scratch_load_dwordx4 v[50:53], off, off offset:1252 ; 16-byte Folded Reload
	scratch_load_dwordx4 v[54:57], off, off offset:1268 ; 16-byte Folded Reload
	;; [unrolled: 1-line block ×8, first 2 shown]
	v_accvgpr_read_b32 v18, a34
	v_mov_b64_e32 v[4:5], -1
	v_mov_b32_e32 v11, -1
	v_mov_b32_e32 v12, -1
	v_mov_b64_e32 v[6:7], v[4:5]
	s_waitcnt vmcnt(8)
	v_cmp_eq_u32_e32 vcc, 1, v10
	s_nop 1
	v_cndmask_b32_e32 v0, v179, v117, vcc
	v_cmp_eq_u32_e64 s[0:1], 2, v10
	v_cmp_eq_u32_e64 s[2:3], 3, v10
	v_cndmask_b32_e32 v1, v178, v116, vcc
	v_cndmask_b32_e64 v0, v0, v115, s[0:1]
	v_cndmask_b32_e64 v0, v0, v49, s[2:3]
	v_cmp_eq_u32_e32 vcc, 4, v10
	v_cndmask_b32_e64 v1, v1, v114, s[0:1]
	v_cmp_eq_u32_e64 s[0:1], 5, v10
	v_cndmask_b32_e32 v0, v0, v95, vcc
	v_cndmask_b32_e64 v1, v1, v48, s[2:3]
	s_waitcnt vmcnt(5)
	v_cndmask_b32_e64 v0, v0, v61, s[0:1]
	scratch_load_dwordx4 v[50:53], off, off offset:996 ; 16-byte Folded Reload
	scratch_load_dwordx4 v[54:57], off, off offset:1012 ; 16-byte Folded Reload
	;; [unrolled: 1-line block ×8, first 2 shown]
	v_cndmask_b32_e32 v1, v1, v94, vcc
	v_cmp_eq_u32_e32 vcc, 6, v10
	s_waitcnt vmcnt(4)
	s_nop 0
	v_cndmask_b32_e32 v0, v0, v63, vcc
	scratch_load_dwordx4 v[50:53], off, off offset:868 ; 16-byte Folded Reload
	scratch_load_dwordx4 v[54:57], off, off offset:884 ; 16-byte Folded Reload
	;; [unrolled: 1-line block ×8, first 2 shown]
	s_waitcnt vmcnt(5)
	v_cndmask_b32_e64 v1, v1, v60, s[0:1]
	scratch_load_dwordx4 v[50:53], off, off offset:1124 ; 16-byte Folded Reload
	scratch_load_dwordx4 v[54:57], off, off offset:1140 ; 16-byte Folded Reload
	;; [unrolled: 1-line block ×8, first 2 shown]
	v_cmp_eq_u32_e64 s[0:1], 7, v10
	v_cndmask_b32_e32 v1, v1, v36, vcc
	v_cmp_eq_u32_e32 vcc, 8, v10
	v_cndmask_b32_e64 v2, v1, v212, s[0:1]
	s_waitcnt vmcnt(4)
	v_cndmask_b32_e64 v0, v0, v65, s[0:1]
	scratch_load_dwordx4 v[50:53], off, off offset:740 ; 16-byte Folded Reload
	scratch_load_dwordx4 v[54:57], off, off offset:756 ; 16-byte Folded Reload
	;; [unrolled: 1-line block ×8, first 2 shown]
	v_cmp_lt_i32_e64 s[0:1], -1, v10
	s_waitcnt vmcnt(3)
	v_cndmask_b32_e32 v1, v0, v67, vcc
	v_cndmask_b32_e32 v0, v2, v18, vcc
	v_mov_b64_e32 v[2:3], 0
	s_and_saveexec_b64 s[10:11], s[0:1]
	s_cbranch_execz .LBB2_42
; %bb.39:
	scratch_load_dwordx4 v[50:53], off, off offset:740 ; 16-byte Folded Reload
	scratch_load_dwordx4 v[54:57], off, off offset:756 ; 16-byte Folded Reload
	;; [unrolled: 1-line block ×8, first 2 shown]
	s_mov_b64 s[12:13], 0
	v_mov_b32_e32 v11, -1
	v_mov_b32_e32 v5, v10
	v_mov_b32_e32 v4, -1
	v_mov_b32_e32 v6, -1
	;; [unrolled: 1-line block ×3, first 2 shown]
	v_mov_b64_e32 v[8:9], v[0:1]
	v_accvgpr_read_b32 v18, a34
	s_waitcnt vmcnt(3)
	v_mov_b32_e32 v19, v67
	scratch_load_dwordx4 v[50:53], off, off offset:1124 ; 16-byte Folded Reload
	scratch_load_dwordx4 v[54:57], off, off offset:1140 ; 16-byte Folded Reload
	scratch_load_dwordx4 v[58:61], off, off offset:1156 ; 16-byte Folded Reload
	scratch_load_dwordx4 v[62:65], off, off offset:1172 ; 16-byte Folded Reload
	scratch_load_dwordx4 v[66:69], off, off offset:1188 ; 16-byte Folded Reload
	scratch_load_dwordx4 v[70:73], off, off offset:1204 ; 16-byte Folded Reload
	scratch_load_dwordx4 v[74:77], off, off offset:1220 ; 16-byte Folded Reload
	scratch_load_dwordx4 v[78:81], off, off offset:1236 ; 16-byte Folded Reload
	s_waitcnt vmcnt(4)
	v_mov_b32_e32 v15, v65
	scratch_load_dwordx4 v[50:53], off, off offset:996 ; 16-byte Folded Reload
	scratch_load_dwordx4 v[54:57], off, off offset:1012 ; 16-byte Folded Reload
	scratch_load_dwordx4 v[58:61], off, off offset:1028 ; 16-byte Folded Reload
	scratch_load_dwordx4 v[62:65], off, off offset:1044 ; 16-byte Folded Reload
	scratch_load_dwordx4 v[66:69], off, off offset:1060 ; 16-byte Folded Reload
	scratch_load_dwordx4 v[70:73], off, off offset:1076 ; 16-byte Folded Reload
	scratch_load_dwordx4 v[74:77], off, off offset:1092 ; 16-byte Folded Reload
	scratch_load_dwordx4 v[78:81], off, off offset:1108 ; 16-byte Folded Reload
	;; [unrolled: 10-line block ×4, first 2 shown]
	s_waitcnt vmcnt(5)
	v_mov_b32_e32 v14, v60
.LBB2_40:                               ; =>This Inner Loop Header: Depth=1
	s_waitcnt vmcnt(0)
	v_lshl_add_u32 v2, v5, 2, v40
	scratch_load_dword v7, v2, off
	scratch_load_dword v40, off, off offset:96 ; 4-byte Folded Reload
	s_waitcnt vmcnt(1)
	v_cmp_gt_i32_e32 vcc, 0, v7
	s_nop 1
	v_cndmask_b32_e32 v13, v7, v10, vcc
	v_cmp_eq_u32_e64 s[2:3], 1, v13
	v_cmp_eq_u32_e64 s[4:5], 2, v13
	;; [unrolled: 1-line block ×3, first 2 shown]
	v_cndmask_b32_e64 v2, v179, v117, s[2:3]
	v_cndmask_b32_e64 v3, v178, v116, s[2:3]
	;; [unrolled: 1-line block ×5, first 2 shown]
	v_cmp_eq_u32_e64 s[2:3], 4, v13
	v_cndmask_b32_e64 v3, v3, v48, s[6:7]
	v_cmp_eq_u32_e64 s[4:5], 5, v13
	v_cndmask_b32_e64 v2, v2, v95, s[2:3]
	v_cndmask_b32_e64 v3, v3, v94, s[2:3]
	;; [unrolled: 1-line block ×3, first 2 shown]
	v_cmp_eq_u32_e64 s[2:3], 6, v13
	v_cndmask_b32_e64 v3, v3, v14, s[4:5]
	v_cmp_eq_u32_e64 s[4:5], 7, v13
	v_cndmask_b32_e64 v2, v2, v21, s[2:3]
	v_cndmask_b32_e64 v3, v3, v36, s[2:3]
	;; [unrolled: 1-line block ×4, first 2 shown]
	v_cmp_eq_u32_e64 s[2:3], 8, v13
	s_nop 1
	v_cndmask_b32_e64 v17, v2, v19, s[2:3]
	v_cndmask_b32_e64 v16, v3, v18, s[2:3]
	v_mov_b64_e32 v[2:3], v[8:9]
	v_cmp_le_f64_e64 s[2:3], 0, v[2:3]
	v_cmp_gt_f64_e64 s[4:5], 0, v[2:3]
	v_cmp_gt_f64_e64 s[6:7], 0, v[16:17]
	v_cmp_le_f64_e64 s[8:9], 0, v[16:17]
	s_and_b64 s[2:3], s[2:3], s[6:7]
	s_and_b64 s[4:5], s[4:5], s[8:9]
	v_cndmask_b32_e64 v6, v6, v13, s[2:3]
	v_cndmask_b32_e64 v12, v12, v13, s[4:5]
	v_cndmask_b32_e64 v11, v11, v5, s[2:3]
	v_cndmask_b32_e64 v4, v4, v5, s[4:5]
	s_or_b64 s[12:13], vcc, s[12:13]
	v_mov_b32_e32 v5, v7
	v_mov_b64_e32 v[8:9], v[16:17]
	s_andn2_b64 exec, exec, s[12:13]
	s_cbranch_execnz .LBB2_40
; %bb.41:
	s_or_b64 exec, exec, s[12:13]
.LBB2_42:
	s_or_b64 exec, exec, s[10:11]
	v_cmp_lt_i32_e64 s[2:3], -1, v11
	v_mov_b32_e32 v7, -1
	v_mov_b32_e32 v5, -1
	;; [unrolled: 1-line block ×3, first 2 shown]
	s_and_saveexec_b64 s[52:53], s[2:3]
	s_cbranch_execz .LBB2_44
; %bb.43:
	v_mov_b32_e32 v14, v36
	scratch_load_dwordx4 v[16:19], off, off offset:1252 ; 16-byte Folded Reload
	scratch_load_dwordx4 v[20:23], off, off offset:1268 ; 16-byte Folded Reload
	;; [unrolled: 1-line block ×8, first 2 shown]
	v_cmp_eq_u32_e64 s[4:5], 1, v6
	v_cmp_eq_u32_e64 s[6:7], 2, v6
	;; [unrolled: 1-line block ×3, first 2 shown]
	v_cndmask_b32_e64 v5, v179, v117, s[4:5]
	v_cmp_eq_u32_e64 s[10:11], 4, v6
	v_cmp_eq_u32_e64 s[12:13], 5, v6
	;; [unrolled: 1-line block ×5, first 2 shown]
	v_cndmask_b32_e64 v6, v178, v116, s[4:5]
	v_cndmask_b32_e64 v5, v5, v115, s[6:7]
	;; [unrolled: 1-line block ×7, first 2 shown]
	v_cmp_eq_u32_e64 s[20:21], 1, v11
	v_cmp_eq_u32_e64 s[22:23], 2, v11
	;; [unrolled: 1-line block ×8, first 2 shown]
	v_accvgpr_read_b32 v63, a123
	v_accvgpr_read_b32 v61, a111
	;; [unrolled: 1-line block ×6, first 2 shown]
	s_waitcnt vmcnt(5)
	v_mov_b32_e32 v53, v27
	scratch_load_dwordx4 v[16:19], off, off offset:996 ; 16-byte Folded Reload
	scratch_load_dwordx4 v[20:23], off, off offset:1012 ; 16-byte Folded Reload
	;; [unrolled: 1-line block ×8, first 2 shown]
	v_cndmask_b32_e64 v5, v5, v53, s[12:13]
	s_waitcnt vmcnt(4)
	v_mov_b32_e32 v51, v29
	scratch_load_dwordx4 v[16:19], off, off offset:1124 ; 16-byte Folded Reload
	scratch_load_dwordx4 v[20:23], off, off offset:1140 ; 16-byte Folded Reload
	;; [unrolled: 1-line block ×16, first 2 shown]
	s_waitcnt vmcnt(10)
	v_accvgpr_read_b32 v38, a34
	v_cndmask_b32_e64 v5, v5, v51, s[14:15]
	s_waitcnt vmcnt(9)
	v_accvgpr_read_b32 v41, a181
	v_mov_b32_e32 v43, v31
	s_waitcnt vmcnt(5)
	v_accvgpr_read_b32 v32, a134
	scratch_load_dwordx4 a[124:127], off, off offset:740 ; 16-byte Folded Reload
	scratch_load_dwordx4 a[128:131], off, off offset:756 ; 16-byte Folded Reload
	;; [unrolled: 1-line block ×16, first 2 shown]
	v_cndmask_b32_e64 v6, v6, v32, s[12:13]
	v_cndmask_b32_e64 v6, v6, v14, s[14:15]
	;; [unrolled: 1-line block ×15, first 2 shown]
	s_waitcnt vmcnt(11)
	v_accvgpr_read_b32 v39, a141
	v_cndmask_b32_e64 v21, v5, v39, s[18:19]
	v_cndmask_b32_e64 v5, v179, v117, s[20:21]
	;; [unrolled: 1-line block ×9, first 2 shown]
	v_add_f64 v[8:9], -v[20:21], 0
	v_add_f64 v[16:17], v[22:23], -v[20:21]
	v_div_scale_f64 v[18:19], s[38:39], v[16:17], v[16:17], v[8:9]
	v_rcp_f64_e32 v[24:25], v[18:19]
	v_cndmask_b32_e64 v5, v113, v111, s[20:21]
	v_cndmask_b32_e64 v5, v5, v109, s[22:23]
	v_fma_f64 v[26:27], -v[18:19], v[24:25], 1.0
	v_fmac_f64_e32 v[24:25], v[24:25], v[26:27]
	v_fma_f64 v[26:27], -v[18:19], v[24:25], 1.0
	v_fmac_f64_e32 v[24:25], v[24:25], v[26:27]
	v_div_scale_f64 v[26:27], vcc, v[8:9], v[16:17], v[8:9]
	v_mul_f64 v[28:29], v[26:27], v[24:25]
	v_fma_f64 v[18:19], -v[18:19], v[28:29], v[26:27]
	s_nop 1
	v_div_fmas_f64 v[18:19], v[18:19], v[24:25], v[28:29]
	s_waitcnt vmcnt(6)
	v_accvgpr_read_b32 v24, a24
	v_accvgpr_read_b32 v25, a25
	scratch_load_dwordx4 a[18:21], off, off offset:228 ; 16-byte Folded Reload
	scratch_load_dwordx4 a[22:25], off, off offset:244 ; 16-byte Folded Reload
	;; [unrolled: 1-line block ×8, first 2 shown]
	v_cndmask_b32_e64 v5, v5, v25, s[24:25]
	v_div_fixup_f64 v[28:29], v[18:19], v[16:17], v[8:9]
	v_cndmask_b32_e64 v6, v6, v24, s[24:25]
	v_add_f64 v[30:31], -v[28:29], 1.0
	s_waitcnt vmcnt(5)
	v_accvgpr_read_b32 v26, a26
	v_accvgpr_read_b32 v27, a27
	scratch_load_dwordx4 a[18:21], off, off offset:1380 ; 16-byte Folded Reload
	scratch_load_dwordx4 a[22:25], off, off offset:1396 ; 16-byte Folded Reload
	scratch_load_dwordx4 a[26:29], off, off offset:1412 ; 16-byte Folded Reload
	scratch_load_dwordx4 a[30:33], off, off offset:1428 ; 16-byte Folded Reload
	scratch_load_dwordx4 a[34:37], off, off offset:1444 ; 16-byte Folded Reload
	scratch_load_dwordx4 a[38:41], off, off offset:1460 ; 16-byte Folded Reload
	scratch_load_dwordx4 a[42:45], off, off offset:1476 ; 16-byte Folded Reload
	scratch_load_dwordx4 a[46:49], off, off offset:1492 ; 16-byte Folded Reload
	v_cndmask_b32_e64 v5, v5, v27, s[26:27]
	v_cndmask_b32_e64 v5, v5, v41, s[28:29]
	v_cndmask_b32_e64 v6, v6, v26, s[26:27]
	s_waitcnt vmcnt(4)
	v_accvgpr_read_b32 v37, a31
	scratch_load_dwordx4 a[18:21], off, off offset:2020 ; 16-byte Folded Reload
	scratch_load_dwordx4 a[22:25], off, off offset:2036 ; 16-byte Folded Reload
	scratch_load_dwordx4 a[26:29], off, off offset:2052 ; 16-byte Folded Reload
	scratch_load_dwordx4 a[30:33], off, off offset:2068 ; 16-byte Folded Reload
	scratch_load_dwordx4 a[34:37], off, off offset:2084 ; 16-byte Folded Reload
	scratch_load_dwordx4 a[38:41], off, off offset:2100 ; 16-byte Folded Reload
	scratch_load_dwordx4 a[42:45], off, off offset:2116 ; 16-byte Folded Reload
	scratch_load_dwordx4 a[46:49], off, off offset:2132 ; 16-byte Folded Reload
	v_cndmask_b32_e64 v5, v5, v37, s[30:31]
	s_waitcnt vmcnt(4)
	v_accvgpr_read_b32 v33, a33
	scratch_load_dwordx4 a[18:21], off, off offset:1764 ; 16-byte Folded Reload
	scratch_load_dwordx4 a[22:25], off, off offset:1780 ; 16-byte Folded Reload
	scratch_load_dwordx4 a[26:29], off, off offset:1796 ; 16-byte Folded Reload
	scratch_load_dwordx4 a[30:33], off, off offset:1812 ; 16-byte Folded Reload
	scratch_load_dwordx4 a[34:37], off, off offset:1828 ; 16-byte Folded Reload
	scratch_load_dwordx4 a[38:41], off, off offset:1844 ; 16-byte Folded Reload
	scratch_load_dwordx4 a[42:45], off, off offset:1860 ; 16-byte Folded Reload
	scratch_load_dwordx4 a[46:49], off, off offset:1876 ; 16-byte Folded Reload
	v_cndmask_b32_e64 v5, v5, v33, s[34:35]
	;; [unrolled: 11-line block ×6, first 2 shown]
	v_cndmask_b32_e64 v5, v113, v111, s[4:5]
	v_cndmask_b32_e64 v5, v5, v109, s[6:7]
	;; [unrolled: 1-line block ×8, first 2 shown]
	scratch_load_dword v5, off, off offset:84
	s_waitcnt vmcnt(4)
	v_accvgpr_read_b32 v18, a34
	v_cndmask_b32_e64 v8, v6, v18, s[36:37]
	v_cndmask_b32_e64 v6, v112, v110, s[4:5]
	;; [unrolled: 1-line block ×9, first 2 shown]
	v_mul_f64 v[34:35], v[16:17], v[30:31]
	v_fmac_f64_e32 v[34:35], v[8:9], v[28:29]
	s_waitcnt vmcnt(0)
	v_cmp_eq_u32_e64 s[42:43], 7, v5
	v_cmp_eq_u32_e64 s[44:45], 6, v5
	v_cndmask_b32_e64 v8, v185, v255, s[20:21]
	v_cndmask_b32_e64 v9, v36, v34, s[42:43]
	;; [unrolled: 1-line block ×3, first 2 shown]
	v_mul_f64 v[36:37], v[20:21], v[30:31]
	v_fmac_f64_e32 v[36:37], v[22:23], v[28:29]
	v_cndmask_b32_e64 v22, v212, v36, s[42:43]
	scratch_load_dwordx4 v[198:201], off, off offset:484 ; 16-byte Folded Reload
	scratch_load_dwordx4 v[202:205], off, off offset:500 ; 16-byte Folded Reload
	;; [unrolled: 1-line block ×8, first 2 shown]
	v_cndmask_b32_e64 v8, v8, v181, s[22:23]
	v_cndmask_b32_e64 v8, v8, v127, s[24:25]
	;; [unrolled: 1-line block ×5, first 2 shown]
	v_cmp_eq_u32_e64 s[40:41], 8, v5
	v_cmp_eq_u32_e64 s[46:47], 5, v5
	v_cmp_eq_u32_e32 vcc, 4, v5
	v_cndmask_b32_e64 v8, v8, v59, s[34:35]
	v_cndmask_b32_e64 v15, v42, v34, s[46:47]
	v_cndmask_b32_e32 v45, v27, v35, vcc
	v_cndmask_b32_e64 v27, v39, v37, s[40:41]
	v_cndmask_b32_e64 v42, v184, v254, s[4:5]
	;; [unrolled: 1-line block ×12, first 2 shown]
	v_cndmask_b32_e32 v44, v26, v34, vcc
	v_cndmask_b32_e64 v26, v43, v37, s[42:43]
	v_cmp_eq_u32_e64 s[38:39], 3, v5
	v_cndmask_b32_e32 v50, v94, v36, vcc
	v_cndmask_b32_e64 v13, v40, v34, s[44:45]
	v_cndmask_b32_e64 v47, v25, v35, s[38:39]
	;; [unrolled: 1-line block ×3, first 2 shown]
	v_cndmask_b32_e32 v51, v95, v37, vcc
	v_accvgpr_read_b32 v40, a236
	v_cndmask_b32_e64 v16, v41, v35, s[46:47]
	v_cndmask_b32_e64 v21, v14, v36, s[44:45]
	v_accvgpr_read_b32 v14, a222
	v_cndmask_b32_e64 v6, v18, v34, s[40:41]
	v_cndmask_b32_e64 v18, v33, v35, s[42:43]
	;; [unrolled: 1-line block ×3, first 2 shown]
	v_accvgpr_read_b32 v33, a17
	v_accvgpr_read_b32 v32, a206
	v_cndmask_b32_e64 v19, v19, v35, s[40:41]
	v_cndmask_b32_e64 v46, v24, v34, s[38:39]
	;; [unrolled: 1-line block ×5, first 2 shown]
	s_waitcnt vmcnt(4)
	v_mov_b32_e32 v56, v210
	scratch_load_dwordx4 v[198:201], off, off offset:356 ; 16-byte Folded Reload
	scratch_load_dwordx4 v[202:205], off, off offset:372 ; 16-byte Folded Reload
	;; [unrolled: 1-line block ×8, first 2 shown]
	v_cndmask_b32_e64 v42, v42, v56, s[14:15]
	v_cndmask_b32_e64 v38, v38, v56, s[30:31]
	;; [unrolled: 1-line block ×4, first 2 shown]
	s_waitcnt vmcnt(3)
	v_mov_b32_e32 v57, v215
	scratch_load_dwordx4 v[198:201], off, off offset:612 ; 16-byte Folded Reload
	scratch_load_dwordx4 v[202:205], off, off offset:628 ; 16-byte Folded Reload
	;; [unrolled: 1-line block ×8, first 2 shown]
	v_cndmask_b32_e64 v39, v8, v57, s[36:37]
	v_cndmask_b32_e64 v8, v185, v255, s[4:5]
	v_cndmask_b32_e64 v8, v8, v181, s[6:7]
	v_cndmask_b32_e64 v8, v8, v127, s[8:9]
	v_cndmask_b32_e64 v8, v8, v85, s[10:11]
	v_cndmask_b32_e64 v8, v8, v63, s[12:13]
	v_cndmask_b32_e64 v8, v8, v61, s[14:15]
	v_cndmask_b32_e64 v8, v8, v59, s[16:17]
	v_cndmask_b32_e64 v43, v8, v57, s[18:19]
	v_cndmask_b32_e64 v8, v189, v175, s[4:5]
	v_cndmask_b32_e64 v8, v8, v183, s[6:7]
	v_cndmask_b32_e64 v8, v8, v197, s[8:9]
	v_cndmask_b32_e64 v8, v8, v119, s[10:11]
	v_cndmask_b32_e64 v8, v8, v99, s[12:13]
	v_cndmask_b32_e64 v8, v8, v97, s[14:15]
	s_waitcnt vmcnt(3)
	v_mov_b32_e32 v52, v214
	v_cndmask_b32_e64 v42, v42, v52, s[18:19]
	v_cndmask_b32_e64 v38, v38, v52, s[36:37]
	v_mul_f64 v[42:43], v[42:43], v[30:31]
	v_fmac_f64_e32 v[42:43], v[38:39], v[28:29]
	v_cndmask_b32_e64 v58, v61, v43, s[44:45]
	v_cndmask_b32_e32 v60, v84, v42, vcc
	v_cndmask_b32_e32 v61, v85, v43, vcc
	scratch_load_dwordx4 v[64:67], off, off offset:2284 ; 16-byte Folded Reload
	scratch_load_dwordx4 v[68:71], off, off offset:2300 ; 16-byte Folded Reload
	;; [unrolled: 1-line block ×8, first 2 shown]
	v_cndmask_b32_e64 v38, v188, v174, s[4:5]
	v_cndmask_b32_e64 v38, v38, v182, s[6:7]
	;; [unrolled: 1-line block ×13, first 2 shown]
	v_cmp_eq_u32_e64 s[4:5], 2, v5
	v_cmp_eq_u32_e64 s[6:7], 2, v4
	;; [unrolled: 1-line block ×3, first 2 shown]
	s_waitcnt vmcnt(6)
	v_cndmask_b32_e64 v71, v108, v34, s[4:5]
	s_waitcnt vmcnt(4)
	v_cndmask_b32_e64 v77, v109, v35, s[4:5]
	;; [unrolled: 2-line block ×3, first 2 shown]
	v_cndmask_b32_e64 v83, v115, v37, s[4:5]
	s_waitcnt vmcnt(2)
	v_cndmask_b32_e64 v86, v180, v42, s[4:5]
	s_waitcnt vmcnt(1)
	v_cndmask_b32_e64 v89, v181, v43, s[4:5]
	v_cmp_eq_u32_e64 s[10:11], 4, v4
	v_cmp_eq_u32_e64 s[12:13], 5, v4
	;; [unrolled: 1-line block ×3, first 2 shown]
	v_cndmask_b32_e64 v59, v63, v43, s[46:47]
	v_cndmask_b32_e64 v62, v126, v42, s[38:39]
	;; [unrolled: 1-line block ×4, first 2 shown]
	v_mov_b32_e32 v41, v79
	v_cndmask_b32_e64 v8, v8, v41, s[16:17]
	v_cndmask_b32_e64 v39, v8, v33, s[18:19]
	v_mul_f64 v[30:31], v[38:39], v[30:31]
	v_cndmask_b32_e64 v8, v189, v175, s[20:21]
	v_cndmask_b32_e64 v38, v188, v174, s[20:21]
	v_cndmask_b32_e64 v8, v8, v183, s[22:23]
	v_cndmask_b32_e64 v38, v38, v182, s[22:23]
	v_cndmask_b32_e64 v8, v8, v197, s[24:25]
	v_cndmask_b32_e64 v38, v38, v196, s[24:25]
	v_cndmask_b32_e64 v8, v8, v119, s[26:27]
	v_cndmask_b32_e64 v38, v38, v118, s[26:27]
	v_cndmask_b32_e64 v8, v8, v99, s[28:29]
	v_cndmask_b32_e64 v38, v38, v232, s[28:29]
	v_cndmask_b32_e64 v8, v8, v97, s[30:31]
	v_cndmask_b32_e64 v38, v38, v40, s[30:31]
	v_cndmask_b32_e64 v8, v8, v41, s[34:35]
	v_cndmask_b32_e64 v38, v38, v14, s[34:35]
	v_cndmask_b32_e64 v39, v8, v33, s[36:37]
	v_cndmask_b32_e64 v38, v38, v32, s[36:37]
	v_fmac_f64_e32 v[30:31], v[38:39], v[28:29]
	v_lshlrev_b32_e32 v8, 2, v5
	v_mov_b32_e32 v28, 0
	v_add3_u32 v8, v28, v8, 40
	scratch_load_dword v8, v8, off
	v_cndmask_b32_e64 v64, v32, v30, s[40:41]
	v_cndmask_b32_e64 v14, v14, v30, s[42:43]
	;; [unrolled: 1-line block ×4, first 2 shown]
	v_cmp_eq_u32_e64 s[40:41], 1, v5
	v_cmp_eq_u32_e64 s[42:43], 0, v5
	v_cndmask_b32_e64 v70, v99, v31, s[46:47]
	v_cndmask_b32_e64 v81, v116, v36, s[40:41]
	;; [unrolled: 1-line block ×5, first 2 shown]
	s_waitcnt vmcnt(1)
	v_cndmask_b32_e64 v93, v182, v30, s[4:5]
	v_cndmask_b32_e64 v99, v183, v31, s[4:5]
	v_cmp_eq_u32_e64 s[4:5], 1, v4
	v_cmp_eq_u32_e64 s[16:17], 7, v4
	;; [unrolled: 1-line block ×3, first 2 shown]
	v_cndmask_b32_e64 v4, v82, v81, s[4:5]
	v_cndmask_b32_e64 v4, v4, v80, s[6:7]
	;; [unrolled: 1-line block ×7, first 2 shown]
	v_cmp_eq_u32_e64 s[20:21], 1, v12
	v_cmp_eq_u32_e64 s[22:23], 2, v12
	;; [unrolled: 1-line block ×8, first 2 shown]
	v_cndmask_b32_e64 v78, v111, v35, s[40:41]
	v_cndmask_b32_e64 v79, v113, v35, s[42:43]
	;; [unrolled: 1-line block ×9, first 2 shown]
	v_cndmask_b32_e32 v92, v118, v30, vcc
	v_cndmask_b32_e64 v96, v174, v30, s[40:41]
	v_cndmask_b32_e64 v97, v188, v30, s[42:43]
	v_cndmask_b32_e32 v98, v119, v31, vcc
	v_cndmask_b32_e64 v100, v189, v31, s[42:43]
	v_cndmask_b32_e64 v87, v254, v42, s[40:41]
	;; [unrolled: 1-line block ×5, first 2 shown]
	s_waitcnt vmcnt(0)
	v_lshlrev_b32_e32 v29, 2, v8
	v_add3_u32 v28, v28, v29, 40
	scratch_load_dword v73, v28, off
	v_cndmask_b32_e64 v28, v85, v84, s[4:5]
	v_cndmask_b32_e64 v28, v28, v83, s[6:7]
	;; [unrolled: 1-line block ×25, first 2 shown]
	v_add_f64 v[32:33], -v[28:29], 0
	v_add_f64 v[36:37], v[34:35], -v[28:29]
	v_div_scale_f64 v[38:39], s[38:39], v[36:37], v[36:37], v[32:33]
	v_rcp_f64_e32 v[40:41], v[38:39]
	v_cndmask_b32_e64 v4, v175, v31, s[40:41]
	v_cmp_eq_u32_e64 s[38:39], 3, v8
	v_cmp_eq_u32_e64 s[40:41], 2, v8
	v_fma_f64 v[30:31], -v[38:39], v[40:41], 1.0
	v_fmac_f64_e32 v[40:41], v[40:41], v[30:31]
	v_fma_f64 v[30:31], -v[38:39], v[40:41], 1.0
	v_fmac_f64_e32 v[40:41], v[40:41], v[30:31]
	v_div_scale_f64 v[30:31], vcc, v[32:33], v[36:37], v[32:33]
	v_mul_f64 v[42:43], v[30:31], v[40:41]
	v_fma_f64 v[30:31], -v[38:39], v[42:43], v[30:31]
	v_cmp_eq_u32_e64 s[42:43], 1, v8
	s_nop 0
	v_div_fmas_f64 v[30:31], v[30:31], v[40:41], v[42:43]
	v_div_fixup_f64 v[30:31], v[30:31], v[36:37], v[32:33]
	v_cndmask_b32_e64 v36, v79, v78, s[4:5]
	v_cndmask_b32_e64 v32, v79, v78, s[20:21]
	;; [unrolled: 1-line block ×31, first 2 shown]
	v_add_f64 v[38:39], -v[30:31], 1.0
	v_cndmask_b32_e64 v32, v32, v6, s[36:37]
	v_mul_f64 v[36:37], v[36:37], v[38:39]
	v_fmac_f64_e32 v[36:37], v[32:33], v[30:31]
	v_cmp_eq_u32_e32 vcc, 4, v8
	s_waitcnt vmcnt(0)
	scratch_store_dword off, v73, off offset:84
	v_cmp_eq_u32_e64 s[44:45], 0, v8
	v_cndmask_b32_e32 v33, v45, v37, vcc
	v_cndmask_b32_e32 v32, v44, v36, vcc
	scratch_store_dwordx4 off, v[24:27], off offset:228 ; 16-byte Folded Spill
	s_nop 0
	scratch_store_dwordx4 off, v[28:31], off offset:244 ; 16-byte Folded Spill
	scratch_store_dwordx4 off, v[32:35], off offset:260 ; 16-byte Folded Spill
	;; [unrolled: 1-line block ×7, first 2 shown]
	v_cndmask_b32_e64 v33, v47, v37, s[38:39]
	v_cndmask_b32_e64 v32, v46, v36, s[38:39]
	scratch_store_dwordx4 off, v[26:29], off offset:100 ; 16-byte Folded Spill
	s_nop 0
	scratch_store_dwordx4 off, v[30:33], off offset:116 ; 16-byte Folded Spill
	scratch_store_dwordx4 off, v[34:37], off offset:132 ; 16-byte Folded Spill
	;; [unrolled: 1-line block ×7, first 2 shown]
	v_cndmask_b32_e64 v32, v91, v90, s[20:21]
	v_cndmask_b32_e64 v32, v32, v89, s[22:23]
	v_cndmask_b32_e64 v32, v32, v63, s[24:25]
	v_cndmask_b32_e64 v32, v32, v61, s[26:27]
	v_cndmask_b32_e64 v32, v32, v59, s[28:29]
	v_cndmask_b32_e64 v32, v32, v58, s[30:31]
	v_cndmask_b32_e64 v40, v100, v4, s[4:5]
	v_cndmask_b32_e64 v40, v40, v99, s[6:7]
	v_cndmask_b32_e64 v40, v40, v75, s[8:9]
	v_cndmask_b32_e64 v40, v40, v98, s[10:11]
	v_cndmask_b32_e64 v40, v40, v70, s[12:13]
	v_cndmask_b32_e64 v40, v40, v69, s[14:15]
	v_cndmask_b32_e64 v40, v40, v68, s[16:17]
	v_cndmask_b32_e64 v41, v40, v67, s[18:19]
	v_cndmask_b32_e64 v40, v97, v96, s[4:5]
	v_cndmask_b32_e64 v40, v40, v93, s[6:7]
	v_cndmask_b32_e64 v40, v40, v74, s[8:9]
	v_cndmask_b32_e64 v40, v40, v92, s[10:11]
	v_cndmask_b32_e64 v40, v40, v66, s[12:13]
	v_cndmask_b32_e64 v40, v40, v65, s[14:15]
	v_cndmask_b32_e64 v40, v40, v14, s[16:17]
	v_cndmask_b32_e64 v40, v40, v64, s[18:19]
	v_mul_f64 v[28:29], v[28:29], v[38:39]
	v_fmac_f64_e32 v[28:29], v[34:35], v[30:31]
	v_cndmask_b32_e64 v34, v91, v90, s[4:5]
	v_cndmask_b32_e64 v34, v34, v89, s[6:7]
	;; [unrolled: 1-line block ×26, first 2 shown]
	v_mul_f64 v[34:35], v[34:35], v[38:39]
	v_fmac_f64_e32 v[34:35], v[32:33], v[30:31]
	v_cndmask_b32_e64 v32, v100, v4, s[20:21]
	v_cndmask_b32_e64 v32, v32, v99, s[22:23]
	;; [unrolled: 1-line block ×16, first 2 shown]
	v_mul_f64 v[38:39], v[40:41], v[38:39]
	v_cmp_eq_u32_e64 s[8:9], 8, v8
	v_fmac_f64_e32 v[38:39], v[32:33], v[30:31]
	v_cndmask_b32_e32 v95, v51, v29, vcc
	v_cndmask_b32_e64 v19, v19, v37, s[8:9]
	v_cndmask_b32_e32 v94, v50, v28, vcc
	v_cndmask_b32_e64 v49, v49, v29, s[38:39]
	v_cndmask_b32_e64 v48, v48, v28, s[38:39]
	;; [unrolled: 1-line block ×8, first 2 shown]
	v_cndmask_b32_e32 v85, v61, v35, vcc
	v_cndmask_b32_e32 v84, v60, v34, vcc
	v_cndmask_b32_e32 v119, v98, v39, vcc
	v_cndmask_b32_e32 v118, v92, v38, vcc
	v_cndmask_b32_e64 v175, v4, v39, s[42:43]
	v_cmp_eq_u32_e32 vcc, 7, v8
	v_cmp_eq_u32_e64 s[4:5], 6, v8
	v_cmp_eq_u32_e64 s[6:7], 5, v8
	scratch_store_dwordx4 off, v[2:5], off offset:1892 ; 16-byte Folded Spill
	s_nop 0
	scratch_store_dwordx4 off, v[6:9], off offset:1908 ; 16-byte Folded Spill
	scratch_store_dwordx4 off, v[10:13], off offset:1924 ; 16-byte Folded Spill
	;; [unrolled: 1-line block ×7, first 2 shown]
	v_cndmask_b32_e64 v109, v77, v37, s[40:41]
	v_cndmask_b32_e64 v108, v71, v36, s[40:41]
	;; [unrolled: 1-line block ×22, first 2 shown]
	scratch_store_dwordx4 off, v[14:17], off offset:2148 ; 16-byte Folded Spill
	s_nop 0
	scratch_store_dwordx4 off, v[18:21], off offset:2164 ; 16-byte Folded Spill
	scratch_store_dwordx4 off, v[22:25], off offset:2180 ; 16-byte Folded Spill
	scratch_store_dwordx4 off, v[26:29], off offset:2196 ; 16-byte Folded Spill
	scratch_store_dwordx4 off, v[30:33], off offset:2212 ; 16-byte Folded Spill
	scratch_store_dwordx4 off, v[34:37], off offset:2228 ; 16-byte Folded Spill
	scratch_store_dwordx4 off, v[38:41], off offset:2244 ; 16-byte Folded Spill
	scratch_store_dwordx4 off, v[42:45], off offset:2260 ; 16-byte Folded Spill
	v_cndmask_b32_e32 v19, v18, v37, vcc
	scratch_store_dwordx4 off, v[4:7], off offset:2020 ; 16-byte Folded Spill
	s_nop 0
	scratch_store_dwordx4 off, v[8:11], off offset:2036 ; 16-byte Folded Spill
	scratch_store_dwordx4 off, v[12:15], off offset:2052 ; 16-byte Folded Spill
	;; [unrolled: 1-line block ×7, first 2 shown]
	v_cndmask_b32_e64 v232, v66, v38, s[6:7]
	v_cndmask_b32_e32 v18, v9, v36, vcc
	scratch_store_dwordx4 off, v[4:7], off offset:1508 ; 16-byte Folded Spill
	s_nop 0
	scratch_store_dwordx4 off, v[8:11], off offset:1524 ; 16-byte Folded Spill
	scratch_store_dwordx4 off, v[12:15], off offset:1540 ; 16-byte Folded Spill
	;; [unrolled: 1-line block ×7, first 2 shown]
	v_cndmask_b32_e64 v17, v17, v37, s[4:5]
	scratch_store_dwordx4 off, v[4:7], off offset:1380 ; 16-byte Folded Spill
	s_nop 0
	scratch_store_dwordx4 off, v[8:11], off offset:1396 ; 16-byte Folded Spill
	scratch_store_dwordx4 off, v[12:15], off offset:1412 ; 16-byte Folded Spill
	;; [unrolled: 1-line block ×7, first 2 shown]
	v_cndmask_b32_e64 v18, v13, v36, s[4:5]
	scratch_store_dwordx4 off, v[6:9], off offset:1636 ; 16-byte Folded Spill
	s_nop 0
	scratch_store_dwordx4 off, v[10:13], off offset:1652 ; 16-byte Folded Spill
	scratch_store_dwordx4 off, v[14:17], off offset:1668 ; 16-byte Folded Spill
	scratch_store_dwordx4 off, v[18:21], off offset:1684 ; 16-byte Folded Spill
	scratch_store_dwordx4 off, v[22:25], off offset:1700 ; 16-byte Folded Spill
	scratch_store_dwordx4 off, v[26:29], off offset:1716 ; 16-byte Folded Spill
	scratch_store_dwordx4 off, v[30:33], off offset:1732 ; 16-byte Folded Spill
	scratch_store_dwordx4 off, v[34:37], off offset:1748 ; 16-byte Folded Spill
	scratch_load_dword v40, off, off offset:96 ; 4-byte Folded Reload
	v_cndmask_b32_e64 v13, v16, v37, s[6:7]
	v_cndmask_b32_e64 v16, v15, v36, s[6:7]
	v_accvgpr_write_b32 a181, v13
	scratch_store_dwordx4 off, v[6:9], off offset:1764 ; 16-byte Folded Spill
	s_nop 0
	scratch_store_dwordx4 off, v[10:13], off offset:1780 ; 16-byte Folded Spill
	scratch_store_dwordx4 off, v[14:17], off offset:1796 ; 16-byte Folded Spill
	;; [unrolled: 1-line block ×7, first 2 shown]
	v_cndmask_b32_e64 v17, v27, v29, s[8:9]
	scratch_store_dwordx4 off, v[0:3], off offset:740 ; 16-byte Folded Spill
	s_nop 0
	scratch_store_dwordx4 off, v[4:7], off offset:756 ; 16-byte Folded Spill
	scratch_store_dwordx4 off, v[8:11], off offset:772 ; 16-byte Folded Spill
	;; [unrolled: 1-line block ×7, first 2 shown]
	v_cndmask_b32_e64 v18, v23, v28, s[8:9]
	v_cndmask_b32_e32 v15, v26, v29, vcc
	v_accvgpr_write_b32 a34, v18
	scratch_store_dwordx4 off, v[0:3], off offset:1124 ; 16-byte Folded Spill
	s_nop 0
	scratch_store_dwordx4 off, v[4:7], off offset:1140 ; 16-byte Folded Spill
	scratch_store_dwordx4 off, v[8:11], off offset:1156 ; 16-byte Folded Spill
	;; [unrolled: 1-line block ×7, first 2 shown]
	v_cndmask_b32_e64 v13, v25, v29, s[4:5]
	v_cndmask_b32_e32 v212, v22, v28, vcc
	scratch_store_dwordx4 off, v[0:3], off offset:996 ; 16-byte Folded Spill
	s_nop 0
	scratch_store_dwordx4 off, v[4:7], off offset:1012 ; 16-byte Folded Spill
	scratch_store_dwordx4 off, v[8:11], off offset:1028 ; 16-byte Folded Spill
	;; [unrolled: 1-line block ×7, first 2 shown]
	v_cndmask_b32_e64 v13, v24, v29, s[6:7]
	v_cndmask_b32_e64 v36, v21, v28, s[4:5]
	scratch_store_dwordx4 off, v[2:5], off offset:1252 ; 16-byte Folded Spill
	s_nop 0
	scratch_store_dwordx4 off, v[6:9], off offset:1268 ; 16-byte Folded Spill
	scratch_store_dwordx4 off, v[10:13], off offset:1284 ; 16-byte Folded Spill
	scratch_store_dwordx4 off, v[14:17], off offset:1300 ; 16-byte Folded Spill
	scratch_store_dwordx4 off, v[18:21], off offset:1316 ; 16-byte Folded Spill
	scratch_store_dwordx4 off, v[22:25], off offset:1332 ; 16-byte Folded Spill
	scratch_store_dwordx4 off, v[26:29], off offset:1348 ; 16-byte Folded Spill
	scratch_store_dwordx4 off, v[30:33], off offset:1364 ; 16-byte Folded Spill
	v_cndmask_b32_e64 v16, v20, v28, s[6:7]
	scratch_store_dwordx4 off, v[6:9], off offset:868 ; 16-byte Folded Spill
	s_nop 0
	scratch_store_dwordx4 off, v[10:13], off offset:884 ; 16-byte Folded Spill
	scratch_store_dwordx4 off, v[14:17], off offset:900 ; 16-byte Folded Spill
	scratch_store_dwordx4 off, v[18:21], off offset:916 ; 16-byte Folded Spill
	scratch_store_dwordx4 off, v[22:25], off offset:932 ; 16-byte Folded Spill
	scratch_store_dwordx4 off, v[26:29], off offset:948 ; 16-byte Folded Spill
	scratch_store_dwordx4 off, v[30:33], off offset:964 ; 16-byte Folded Spill
	scratch_store_dwordx4 off, v[34:37], off offset:980 ; 16-byte Folded Spill
	;; [unrolled: 10-line block ×4, first 2 shown]
	v_cndmask_b32_e32 v15, v57, v35, vcc
	v_cndmask_b32_e32 v18, v53, v34, vcc
	v_cndmask_b32_e64 v13, v58, v35, s[4:5]
	v_cndmask_b32_e64 v16, v54, v34, s[4:5]
	v_accvgpr_write_b32 a97, v15
	v_accvgpr_write_b32 a64, v18
	;; [unrolled: 1-line block ×3, first 2 shown]
	scratch_store_dwordx4 off, v[4:7], off offset:484 ; 16-byte Folded Spill
	s_nop 0
	scratch_store_dwordx4 off, v[8:11], off offset:500 ; 16-byte Folded Spill
	scratch_store_dwordx4 off, v[12:15], off offset:516 ; 16-byte Folded Spill
	;; [unrolled: 1-line block ×7, first 2 shown]
	v_cndmask_b32_e64 v17, v67, v39, s[8:9]
	v_cndmask_b32_e64 v16, v64, v38, s[8:9]
	v_cndmask_b32_e32 v15, v68, v39, vcc
	v_accvgpr_write_b32 a17, v17
	v_accvgpr_write_b32 a206, v16
	v_cndmask_b32_e64 v13, v59, v35, s[6:7]
	v_accvgpr_write_b32 a123, v13
	scratch_store_dwordx4 off, v[0:3], off offset:2284 ; 16-byte Folded Spill
	s_nop 0
	scratch_store_dwordx4 off, v[4:7], off offset:2300 ; 16-byte Folded Spill
	scratch_store_dwordx4 off, v[8:11], off offset:2316 ; 16-byte Folded Spill
	;; [unrolled: 1-line block ×7, first 2 shown]
	v_cndmask_b32_e64 v13, v69, v39, s[4:5]
	v_accvgpr_write_b32 a157, v13
	v_cndmask_b32_e64 v13, v70, v39, s[6:7]
	v_cndmask_b32_e64 v152, v55, v34, s[6:7]
	v_accvgpr_write_b32 a169, v13
	v_cndmask_b32_e32 v14, v14, v38, vcc
	v_accvgpr_write_b32 a222, v14
	v_cndmask_b32_e64 v14, v65, v38, s[4:5]
	v_accvgpr_write_b32 a236, v14
.LBB2_44:
	s_or_b64 exec, exec, s[52:53]
	scratch_store_dword off, v7, off offset:80
	s_and_saveexec_b64 s[16:17], s[0:1]
	s_cbranch_execz .LBB2_53
; %bb.45:
	s_mov_b64 s[18:19], 0
	s_branch .LBB2_47
.LBB2_46:                               ;   in Loop: Header=BB2_47 Depth=1
	s_or_b64 exec, exec, s[6:7]
	s_waitcnt vmcnt(0)
	v_cmp_gt_i32_e32 vcc, 0, v4
	s_or_b64 s[18:19], vcc, s[18:19]
	v_mov_b32_e32 v10, v4
	s_andn2_b64 exec, exec, s[18:19]
	s_cbranch_execz .LBB2_53
.LBB2_47:                               ; =>This Inner Loop Header: Depth=1
	scratch_load_dwordx4 v[50:53], off, off offset:1252 ; 16-byte Folded Reload
	scratch_load_dwordx4 v[54:57], off, off offset:1268 ; 16-byte Folded Reload
	;; [unrolled: 1-line block ×8, first 2 shown]
	v_cmp_eq_u32_e32 vcc, 1, v10
	v_cmp_eq_u32_e64 s[4:5], 2, v10
	v_cmp_eq_u32_e64 s[6:7], 3, v10
	v_cndmask_b32_e32 v4, v179, v117, vcc
	v_cndmask_b32_e64 v4, v4, v115, s[4:5]
	v_cndmask_b32_e64 v4, v4, v49, s[6:7]
	v_cmp_eq_u32_e64 s[8:9], 4, v10
	v_cmp_eq_u32_e64 s[10:11], 5, v10
	;; [unrolled: 1-line block ×3, first 2 shown]
	v_cndmask_b32_e64 v4, v4, v95, s[8:9]
	v_cmp_eq_u32_e64 s[14:15], 7, v10
	v_cndmask_b32_e32 v6, v178, v116, vcc
	v_cndmask_b32_e64 v6, v6, v114, s[4:5]
	v_cndmask_b32_e64 v6, v6, v48, s[6:7]
	;; [unrolled: 1-line block ×3, first 2 shown]
	v_cmp_eq_u32_e32 vcc, 8, v10
	v_accvgpr_read_b32 v18, a34
	s_mov_b64 s[4:5], 0
	s_waitcnt vmcnt(5)
	v_cndmask_b32_e64 v4, v4, v61, s[10:11]
	scratch_load_dwordx4 v[50:53], off, off offset:996 ; 16-byte Folded Reload
	scratch_load_dwordx4 v[54:57], off, off offset:1012 ; 16-byte Folded Reload
	scratch_load_dwordx4 v[58:61], off, off offset:1028 ; 16-byte Folded Reload
	scratch_load_dwordx4 v[62:65], off, off offset:1044 ; 16-byte Folded Reload
	scratch_load_dwordx4 v[66:69], off, off offset:1060 ; 16-byte Folded Reload
	scratch_load_dwordx4 v[70:73], off, off offset:1076 ; 16-byte Folded Reload
	scratch_load_dwordx4 v[74:77], off, off offset:1092 ; 16-byte Folded Reload
	scratch_load_dwordx4 v[78:81], off, off offset:1108 ; 16-byte Folded Reload
	s_waitcnt vmcnt(4)
	v_cndmask_b32_e64 v4, v4, v63, s[12:13]
	scratch_load_dwordx4 v[50:53], off, off offset:1124 ; 16-byte Folded Reload
	scratch_load_dwordx4 v[54:57], off, off offset:1140 ; 16-byte Folded Reload
	scratch_load_dwordx4 v[58:61], off, off offset:1156 ; 16-byte Folded Reload
	scratch_load_dwordx4 v[62:65], off, off offset:1172 ; 16-byte Folded Reload
	scratch_load_dwordx4 v[66:69], off, off offset:1188 ; 16-byte Folded Reload
	scratch_load_dwordx4 v[70:73], off, off offset:1204 ; 16-byte Folded Reload
	scratch_load_dwordx4 v[74:77], off, off offset:1220 ; 16-byte Folded Reload
	scratch_load_dwordx4 v[78:81], off, off offset:1236 ; 16-byte Folded Reload
	s_waitcnt vmcnt(4)
	v_cndmask_b32_e64 v4, v4, v65, s[14:15]
	scratch_load_dwordx4 v[50:53], off, off offset:868 ; 16-byte Folded Reload
	scratch_load_dwordx4 v[54:57], off, off offset:884 ; 16-byte Folded Reload
	scratch_load_dwordx4 v[58:61], off, off offset:900 ; 16-byte Folded Reload
	scratch_load_dwordx4 v[62:65], off, off offset:916 ; 16-byte Folded Reload
	scratch_load_dwordx4 v[66:69], off, off offset:932 ; 16-byte Folded Reload
	scratch_load_dwordx4 v[70:73], off, off offset:948 ; 16-byte Folded Reload
	scratch_load_dwordx4 v[74:77], off, off offset:964 ; 16-byte Folded Reload
	scratch_load_dwordx4 v[78:81], off, off offset:980 ; 16-byte Folded Reload
	s_waitcnt vmcnt(5)
	v_cndmask_b32_e64 v6, v6, v60, s[10:11]
	scratch_load_dwordx4 v[50:53], off, off offset:740 ; 16-byte Folded Reload
	scratch_load_dwordx4 v[54:57], off, off offset:756 ; 16-byte Folded Reload
	scratch_load_dwordx4 v[58:61], off, off offset:772 ; 16-byte Folded Reload
	scratch_load_dwordx4 v[62:65], off, off offset:788 ; 16-byte Folded Reload
	scratch_load_dwordx4 v[66:69], off, off offset:804 ; 16-byte Folded Reload
	scratch_load_dwordx4 v[70:73], off, off offset:820 ; 16-byte Folded Reload
	scratch_load_dwordx4 v[74:77], off, off offset:836 ; 16-byte Folded Reload
	scratch_load_dwordx4 v[78:81], off, off offset:852 ; 16-byte Folded Reload
	v_cndmask_b32_e64 v6, v6, v36, s[12:13]
	v_cndmask_b32_e64 v6, v6, v212, s[14:15]
	v_cndmask_b32_e32 v6, v6, v18, vcc
	s_waitcnt vmcnt(3)
	v_cndmask_b32_e32 v7, v4, v67, vcc
	v_cmp_ngt_f64_e32 vcc, 0, v[6:7]
	v_lshl_add_u32 v7, v10, 2, v40
	scratch_load_dword v4, v7, off
                                        ; implicit-def: $vgpr6
	s_and_saveexec_b64 s[6:7], vcc
	s_xor_b64 s[6:7], exec, s[6:7]
	s_cbranch_execnz .LBB2_50
; %bb.48:                               ;   in Loop: Header=BB2_47 Depth=1
	s_andn2_saveexec_b64 s[6:7], s[6:7]
	s_cbranch_execnz .LBB2_51
.LBB2_49:                               ;   in Loop: Header=BB2_47 Depth=1
	s_or_b64 exec, exec, s[6:7]
	s_and_saveexec_b64 s[6:7], s[4:5]
	s_cbranch_execz .LBB2_46
	s_branch .LBB2_52
.LBB2_50:                               ;   in Loop: Header=BB2_47 Depth=1
	scratch_load_dword v6, off, off offset:80
                                        ; implicit-def: $vgpr7
	s_waitcnt vmcnt(0)
	v_cmp_eq_u32_e32 vcc, -1, v6
	v_mov_b32_e32 v6, 0x50
	s_and_b64 s[4:5], vcc, exec
	s_andn2_saveexec_b64 s[6:7], s[6:7]
	s_cbranch_execz .LBB2_49
.LBB2_51:                               ;   in Loop: Header=BB2_47 Depth=1
	scratch_load_dword v9, off, off offset:84
	v_mov_b32_e32 v6, 0x54
	s_or_b64 s[4:5], s[4:5], exec
	s_waitcnt vmcnt(0)
	scratch_store_dword v7, v9, off
	s_or_b64 exec, exec, s[6:7]
	s_and_saveexec_b64 s[6:7], s[4:5]
	s_cbranch_execz .LBB2_46
.LBB2_52:                               ;   in Loop: Header=BB2_47 Depth=1
	scratch_store_dword v6, v10, off
	s_branch .LBB2_46
.LBB2_53:
	s_or_b64 exec, exec, s[16:17]
	s_and_saveexec_b64 s[4:5], s[2:3]
	s_cbranch_execz .LBB2_55
; %bb.54:
	v_cmp_gt_f64_e32 vcc, 0, v[0:1]
	v_lshlrev_b32_e32 v0, 2, v8
	v_mov_b32_e32 v1, 0
	v_cmp_gt_f64_e64 s[2:3], 0, v[2:3]
	s_and_b64 s[0:1], s[0:1], vcc
	v_lshlrev_b32_e32 v3, 2, v5
	v_lshlrev_b32_e32 v4, 2, v11
	v_add3_u32 v0, v1, v0, 40
	s_or_b64 s[0:1], s[2:3], s[0:1]
	v_add3_u32 v3, v1, v3, 40
	v_add3_u32 v1, v1, v4, 40
	v_cndmask_b32_e64 v2, v12, -1, s[0:1]
	scratch_store_dword v1, v5, off
	scratch_store_dword v3, v8, off
	;; [unrolled: 1-line block ×3, first 2 shown]
.LBB2_55:
	s_or_b64 exec, exec, s[4:5]
	scratch_load_dword v10, off, off offset:80
	scratch_load_dwordx4 v[50:53], off, off offset:484 ; 16-byte Folded Reload
	scratch_load_dwordx4 v[54:57], off, off offset:500 ; 16-byte Folded Reload
	;; [unrolled: 1-line block ×8, first 2 shown]
	v_accvgpr_read_b32 v11, a123
	v_accvgpr_read_b32 v13, a111
	;; [unrolled: 1-line block ×4, first 2 shown]
	v_mov_b64_e32 v[4:5], -1
	v_mov_b32_e32 v12, -1
	v_mov_b64_e32 v[6:7], v[4:5]
	s_waitcnt vmcnt(8)
	v_cmp_eq_u32_e32 vcc, 1, v10
	v_cmp_eq_u32_e64 s[0:1], 2, v10
	s_nop 0
	v_cndmask_b32_e32 v1, v184, v254, vcc
	v_cndmask_b32_e32 v0, v185, v255, vcc
	v_cmp_eq_u32_e64 s[2:3], 3, v10
	v_cndmask_b32_e64 v1, v1, v180, s[0:1]
	v_cndmask_b32_e64 v0, v0, v181, s[0:1]
	v_cmp_eq_u32_e32 vcc, 4, v10
	v_cndmask_b32_e64 v1, v1, v126, s[2:3]
	v_cndmask_b32_e64 v0, v0, v127, s[2:3]
	v_cmp_eq_u32_e64 s[0:1], 5, v10
	v_cndmask_b32_e32 v1, v1, v84, vcc
	v_cndmask_b32_e32 v0, v0, v85, vcc
	v_cmp_eq_u32_e32 vcc, 6, v10
	v_cndmask_b32_e64 v1, v1, v152, s[0:1]
	v_cndmask_b32_e64 v0, v0, v11, s[0:1]
	s_waitcnt vmcnt(4)
	v_cndmask_b32_e32 v1, v1, v62, vcc
	scratch_load_dwordx4 v[50:53], off, off offset:356 ; 16-byte Folded Reload
	scratch_load_dwordx4 v[54:57], off, off offset:372 ; 16-byte Folded Reload
	;; [unrolled: 1-line block ×8, first 2 shown]
	v_cndmask_b32_e32 v0, v0, v13, vcc
	v_cmp_eq_u32_e64 s[0:1], 7, v10
	v_cmp_eq_u32_e32 vcc, 8, v10
	v_mov_b32_e32 v11, -1
	v_cndmask_b32_e64 v0, v0, v15, s[0:1]
	v_cndmask_b32_e64 v2, v1, v18, s[0:1]
	v_cmp_lt_i32_e64 s[0:1], -1, v10
	s_waitcnt vmcnt(3)
	v_cndmask_b32_e32 v1, v0, v67, vcc
	scratch_load_dwordx4 v[50:53], off, off offset:612 ; 16-byte Folded Reload
	scratch_load_dwordx4 v[54:57], off, off offset:628 ; 16-byte Folded Reload
	;; [unrolled: 1-line block ×8, first 2 shown]
	s_waitcnt vmcnt(3)
	v_cndmask_b32_e32 v0, v2, v66, vcc
	v_mov_b64_e32 v[2:3], 0
	s_and_saveexec_b64 s[10:11], s[0:1]
	s_cbranch_execz .LBB2_59
; %bb.56:
	scratch_load_dwordx4 v[50:53], off, off offset:356 ; 16-byte Folded Reload
	scratch_load_dwordx4 v[54:57], off, off offset:372 ; 16-byte Folded Reload
	;; [unrolled: 1-line block ×8, first 2 shown]
	s_mov_b64 s[12:13], 0
	v_mov_b32_e32 v11, -1
	v_mov_b32_e32 v5, v10
	v_mov_b32_e32 v4, -1
	v_mov_b32_e32 v6, -1
	;; [unrolled: 1-line block ×3, first 2 shown]
	v_mov_b64_e32 v[8:9], v[0:1]
	v_accvgpr_read_b32 v15, a97
	v_accvgpr_read_b32 v21, a111
	;; [unrolled: 1-line block ×4, first 2 shown]
	s_waitcnt vmcnt(3)
	v_mov_b32_e32 v19, v67
	scratch_load_dwordx4 v[50:53], off, off offset:612 ; 16-byte Folded Reload
	scratch_load_dwordx4 v[54:57], off, off offset:628 ; 16-byte Folded Reload
	;; [unrolled: 1-line block ×8, first 2 shown]
	s_waitcnt vmcnt(3)
	v_mov_b32_e32 v18, v66
	scratch_load_dwordx4 v[50:53], off, off offset:484 ; 16-byte Folded Reload
	scratch_load_dwordx4 v[54:57], off, off offset:500 ; 16-byte Folded Reload
	;; [unrolled: 1-line block ×8, first 2 shown]
	s_waitcnt vmcnt(4)
	v_mov_b32_e32 v22, v62
.LBB2_57:                               ; =>This Inner Loop Header: Depth=1
	s_waitcnt vmcnt(0)
	v_lshl_add_u32 v2, v5, 2, v40
	scratch_load_dword v7, v2, off
	scratch_load_dword v40, off, off offset:96 ; 4-byte Folded Reload
	s_waitcnt vmcnt(1)
	v_cmp_gt_i32_e32 vcc, 0, v7
	s_nop 1
	v_cndmask_b32_e32 v13, v7, v10, vcc
	v_cmp_eq_u32_e64 s[2:3], 1, v13
	v_cmp_eq_u32_e64 s[4:5], 2, v13
	;; [unrolled: 1-line block ×3, first 2 shown]
	v_cndmask_b32_e64 v2, v185, v255, s[2:3]
	v_cndmask_b32_e64 v3, v184, v254, s[2:3]
	;; [unrolled: 1-line block ×5, first 2 shown]
	v_cmp_eq_u32_e64 s[2:3], 4, v13
	v_cndmask_b32_e64 v3, v3, v126, s[6:7]
	v_cmp_eq_u32_e64 s[4:5], 5, v13
	v_cndmask_b32_e64 v2, v2, v85, s[2:3]
	v_cndmask_b32_e64 v3, v3, v84, s[2:3]
	;; [unrolled: 1-line block ×3, first 2 shown]
	v_cmp_eq_u32_e64 s[2:3], 6, v13
	v_cndmask_b32_e64 v3, v3, v152, s[4:5]
	v_cmp_eq_u32_e64 s[4:5], 7, v13
	v_cndmask_b32_e64 v2, v2, v21, s[2:3]
	v_cndmask_b32_e64 v3, v3, v22, s[2:3]
	;; [unrolled: 1-line block ×4, first 2 shown]
	v_cmp_eq_u32_e64 s[2:3], 8, v13
	s_nop 1
	v_cndmask_b32_e64 v17, v2, v19, s[2:3]
	v_cndmask_b32_e64 v16, v3, v18, s[2:3]
	v_mov_b64_e32 v[2:3], v[8:9]
	v_cmp_le_f64_e64 s[2:3], 0, v[2:3]
	v_cmp_gt_f64_e64 s[4:5], 0, v[2:3]
	v_cmp_gt_f64_e64 s[6:7], 0, v[16:17]
	v_cmp_le_f64_e64 s[8:9], 0, v[16:17]
	s_and_b64 s[2:3], s[2:3], s[6:7]
	s_and_b64 s[4:5], s[4:5], s[8:9]
	v_cndmask_b32_e64 v6, v6, v13, s[2:3]
	v_cndmask_b32_e64 v12, v12, v13, s[4:5]
	;; [unrolled: 1-line block ×4, first 2 shown]
	s_or_b64 s[12:13], vcc, s[12:13]
	v_mov_b32_e32 v5, v7
	v_mov_b64_e32 v[8:9], v[16:17]
	s_andn2_b64 exec, exec, s[12:13]
	s_cbranch_execnz .LBB2_57
; %bb.58:
	s_or_b64 exec, exec, s[12:13]
.LBB2_59:
	s_or_b64 exec, exec, s[10:11]
	v_mov_b32_e32 v32, v36
	v_cmp_lt_i32_e64 s[2:3], -1, v11
	v_mov_b32_e32 v7, -1
	v_mov_b32_e32 v5, -1
	;; [unrolled: 1-line block ×3, first 2 shown]
	s_and_saveexec_b64 s[52:53], s[2:3]
	s_cbranch_execz .LBB2_61
; %bb.60:
	v_accvgpr_read_b32 v59, a97
	scratch_load_dwordx4 a[66:69], off, off offset:484 ; 16-byte Folded Reload
	scratch_load_dwordx4 a[70:73], off, off offset:500 ; 16-byte Folded Reload
	;; [unrolled: 1-line block ×8, first 2 shown]
	v_accvgpr_read_b32 v56, a64
	scratch_load_dwordx4 a[36:39], off, off offset:356 ; 16-byte Folded Reload
	scratch_load_dwordx4 a[40:43], off, off offset:372 ; 16-byte Folded Reload
	;; [unrolled: 1-line block ×8, first 2 shown]
	v_cmp_eq_u32_e64 s[4:5], 1, v6
	v_cmp_eq_u32_e64 s[6:7], 2, v6
	;; [unrolled: 1-line block ×3, first 2 shown]
	v_cndmask_b32_e64 v5, v185, v255, s[4:5]
	v_cmp_eq_u32_e64 s[10:11], 4, v6
	v_cmp_eq_u32_e64 s[12:13], 5, v6
	;; [unrolled: 1-line block ×5, first 2 shown]
	v_cndmask_b32_e64 v6, v184, v254, s[4:5]
	v_cndmask_b32_e64 v5, v5, v181, s[6:7]
	;; [unrolled: 1-line block ×6, first 2 shown]
	v_accvgpr_read_b32 v63, a123
	v_cndmask_b32_e64 v6, v6, v84, s[10:11]
	v_cndmask_b32_e64 v5, v5, v63, s[12:13]
	v_accvgpr_read_b32 v61, a111
	v_cndmask_b32_e64 v6, v6, v152, s[12:13]
	v_cndmask_b32_e64 v5, v5, v61, s[14:15]
	;; [unrolled: 1-line block ×3, first 2 shown]
	v_cmp_eq_u32_e64 s[20:21], 1, v11
	v_cmp_eq_u32_e64 s[22:23], 2, v11
	;; [unrolled: 1-line block ×8, first 2 shown]
	v_accvgpr_read_b32 v41, a181
	v_accvgpr_read_b32 v46, a34
	;; [unrolled: 1-line block ×4, first 2 shown]
	s_waitcnt vmcnt(12)
	v_accvgpr_read_b32 v58, a78
	v_cndmask_b32_e64 v6, v6, v58, s[14:15]
	s_waitcnt vmcnt(3)
	v_accvgpr_read_b32 v39, a53
	scratch_load_dwordx4 a[36:39], off, off offset:612 ; 16-byte Folded Reload
	scratch_load_dwordx4 a[40:43], off, off offset:628 ; 16-byte Folded Reload
	;; [unrolled: 1-line block ×8, first 2 shown]
	v_cndmask_b32_e64 v6, v6, v56, s[16:17]
	v_cndmask_b32_e64 v25, v5, v39, s[18:19]
	;; [unrolled: 1-line block ×12, first 2 shown]
	s_waitcnt vmcnt(3)
	v_accvgpr_read_b32 v38, a52
	scratch_load_dwordx4 a[52:55], off, off offset:100 ; 16-byte Folded Reload
	scratch_load_dwordx4 a[56:59], off, off offset:116 ; 16-byte Folded Reload
	;; [unrolled: 1-line block ×8, first 2 shown]
	v_cndmask_b32_e64 v24, v6, v38, s[18:19]
	v_cndmask_b32_e64 v6, v184, v254, s[20:21]
	;; [unrolled: 1-line block ×9, first 2 shown]
	v_add_f64 v[8:9], -v[24:25], 0
	v_add_f64 v[16:17], v[26:27], -v[24:25]
	v_div_scale_f64 v[18:19], s[38:39], v[16:17], v[16:17], v[8:9]
	v_rcp_f64_e32 v[20:21], v[18:19]
	v_cndmask_b32_e64 v6, v112, v110, s[20:21]
	v_cndmask_b32_e64 v6, v6, v108, s[22:23]
	v_fma_f64 v[22:23], -v[18:19], v[20:21], 1.0
	v_fmac_f64_e32 v[20:21], v[20:21], v[22:23]
	v_fma_f64 v[22:23], -v[18:19], v[20:21], 1.0
	v_fmac_f64_e32 v[20:21], v[20:21], v[22:23]
	v_div_scale_f64 v[22:23], vcc, v[8:9], v[16:17], v[8:9]
	v_mul_f64 v[28:29], v[22:23], v[20:21]
	v_fma_f64 v[18:19], -v[18:19], v[28:29], v[22:23]
	s_nop 1
	v_div_fmas_f64 v[18:19], v[18:19], v[20:21], v[28:29]
	v_div_fixup_f64 v[28:29], v[18:19], v[16:17], v[8:9]
	v_add_f64 v[30:31], -v[28:29], 1.0
	v_mul_f64 v[24:25], v[24:25], v[30:31]
	v_fmac_f64_e32 v[24:25], v[26:27], v[28:29]
	v_cndmask_b32_e64 v26, v188, v174, s[4:5]
	v_cndmask_b32_e64 v26, v26, v182, s[6:7]
	;; [unrolled: 1-line block ×5, first 2 shown]
	s_waitcnt vmcnt(6)
	v_accvgpr_read_b32 v20, a58
	v_accvgpr_read_b32 v21, a59
	scratch_load_dwordx4 a[36:39], off, off offset:228 ; 16-byte Folded Reload
	scratch_load_dwordx4 a[40:43], off, off offset:244 ; 16-byte Folded Reload
	;; [unrolled: 1-line block ×8, first 2 shown]
	v_cndmask_b32_e64 v5, v5, v21, s[24:25]
	v_cndmask_b32_e64 v6, v6, v20, s[24:25]
	s_waitcnt vmcnt(5)
	v_accvgpr_read_b32 v22, a44
	v_accvgpr_read_b32 v23, a45
	scratch_load_dwordx4 a[36:39], off, off offset:1380 ; 16-byte Folded Reload
	scratch_load_dwordx4 a[40:43], off, off offset:1396 ; 16-byte Folded Reload
	;; [unrolled: 1-line block ×8, first 2 shown]
	v_cndmask_b32_e64 v5, v5, v23, s[26:27]
	v_cndmask_b32_e64 v5, v5, v41, s[28:29]
	;; [unrolled: 1-line block ×3, first 2 shown]
	s_waitcnt vmcnt(4)
	v_accvgpr_read_b32 v37, a49
	scratch_load_dwordx4 a[36:39], off, off offset:2020 ; 16-byte Folded Reload
	scratch_load_dwordx4 a[40:43], off, off offset:2036 ; 16-byte Folded Reload
	scratch_load_dwordx4 a[44:47], off, off offset:2052 ; 16-byte Folded Reload
	scratch_load_dwordx4 a[48:51], off, off offset:2068 ; 16-byte Folded Reload
	scratch_load_dwordx4 a[52:55], off, off offset:2084 ; 16-byte Folded Reload
	scratch_load_dwordx4 a[56:59], off, off offset:2100 ; 16-byte Folded Reload
	scratch_load_dwordx4 a[60:63], off, off offset:2116 ; 16-byte Folded Reload
	scratch_load_dwordx4 a[64:67], off, off offset:2132 ; 16-byte Folded Reload
	v_cndmask_b32_e64 v5, v5, v37, s[30:31]
	s_waitcnt vmcnt(4)
	v_accvgpr_read_b32 v33, a51
	scratch_load_dwordx4 a[36:39], off, off offset:1764 ; 16-byte Folded Reload
	scratch_load_dwordx4 a[40:43], off, off offset:1780 ; 16-byte Folded Reload
	scratch_load_dwordx4 a[44:47], off, off offset:1796 ; 16-byte Folded Reload
	scratch_load_dwordx4 a[48:51], off, off offset:1812 ; 16-byte Folded Reload
	scratch_load_dwordx4 a[52:55], off, off offset:1828 ; 16-byte Folded Reload
	scratch_load_dwordx4 a[56:59], off, off offset:1844 ; 16-byte Folded Reload
	scratch_load_dwordx4 a[60:63], off, off offset:1860 ; 16-byte Folded Reload
	scratch_load_dwordx4 a[64:67], off, off offset:1876 ; 16-byte Folded Reload
	v_cndmask_b32_e64 v5, v5, v33, s[34:35]
	;; [unrolled: 11-line block ×6, first 2 shown]
	v_cndmask_b32_e64 v5, v113, v111, s[4:5]
	v_cndmask_b32_e64 v5, v5, v109, s[6:7]
	;; [unrolled: 1-line block ×8, first 2 shown]
	scratch_load_dword v5, off, off offset:84
	s_waitcnt vmcnt(4)
	v_accvgpr_read_b32 v18, a52
	scratch_load_dwordx4 a[36:39], off, off offset:1252 ; 16-byte Folded Reload
	scratch_load_dwordx4 a[40:43], off, off offset:1268 ; 16-byte Folded Reload
	;; [unrolled: 1-line block ×8, first 2 shown]
	v_cndmask_b32_e64 v8, v6, v18, s[36:37]
	v_cndmask_b32_e64 v6, v112, v110, s[4:5]
	;; [unrolled: 1-line block ×9, first 2 shown]
	v_mul_f64 v[34:35], v[16:17], v[30:31]
	v_fmac_f64_e32 v[34:35], v[8:9], v[28:29]
	s_waitcnt vmcnt(8)
	v_cmp_eq_u32_e64 s[42:43], 7, v5
	v_cndmask_b32_e64 v8, v179, v117, s[20:21]
	v_cndmask_b32_e64 v8, v8, v115, s[22:23]
	;; [unrolled: 1-line block ×5, first 2 shown]
	v_cmp_eq_u32_e32 vcc, 4, v5
	v_cmp_eq_u32_e64 s[38:39], 3, v5
	v_cmp_eq_u32_e64 s[44:45], 6, v5
	v_cndmask_b32_e32 v42, v22, v34, vcc
	v_cndmask_b32_e64 v45, v21, v35, s[38:39]
	v_cndmask_b32_e64 v22, v178, v116, s[4:5]
	;; [unrolled: 1-line block ×10, first 2 shown]
	v_cndmask_b32_e32 v43, v23, v35, vcc
	v_cndmask_b32_e64 v13, v36, v34, s[44:45]
	v_cndmask_b32_e64 v17, v37, v35, s[44:45]
	v_cmp_eq_u32_e64 s[46:47], 5, v5
	v_cndmask_b32_e64 v60, v61, v25, s[44:45]
	v_cndmask_b32_e32 v62, v84, v24, vcc
	v_cndmask_b32_e64 v61, v63, v25, s[46:47]
	v_cndmask_b32_e32 v63, v85, v25, vcc
	v_cmp_eq_u32_e64 s[40:41], 8, v5
	v_cndmask_b32_e64 v59, v59, v25, s[42:43]
	v_cndmask_b32_e64 v15, v40, v34, s[46:47]
	;; [unrolled: 1-line block ×3, first 2 shown]
	v_accvgpr_read_b32 v38, a236
	v_cndmask_b32_e64 v26, v26, v38, s[14:15]
	v_cndmask_b32_e64 v6, v18, v34, s[40:41]
	;; [unrolled: 1-line block ×3, first 2 shown]
	v_accvgpr_read_b32 v33, a17
	v_cndmask_b32_e64 v19, v19, v35, s[40:41]
	v_cndmask_b32_e64 v57, v152, v24, s[46:47]
	;; [unrolled: 1-line block ×5, first 2 shown]
	s_waitcnt vmcnt(5)
	v_accvgpr_read_b32 v55, a47
	scratch_load_dwordx4 a[36:39], off, off offset:996 ; 16-byte Folded Reload
	scratch_load_dwordx4 a[40:43], off, off offset:1012 ; 16-byte Folded Reload
	scratch_load_dwordx4 a[44:47], off, off offset:1028 ; 16-byte Folded Reload
	scratch_load_dwordx4 a[48:51], off, off offset:1044 ; 16-byte Folded Reload
	scratch_load_dwordx4 a[52:55], off, off offset:1060 ; 16-byte Folded Reload
	scratch_load_dwordx4 a[56:59], off, off offset:1076 ; 16-byte Folded Reload
	scratch_load_dwordx4 a[60:63], off, off offset:1092 ; 16-byte Folded Reload
	scratch_load_dwordx4 a[64:67], off, off offset:1108 ; 16-byte Folded Reload
	v_cndmask_b32_e64 v8, v8, v55, s[28:29]
	s_waitcnt vmcnt(4)
	v_accvgpr_read_b32 v53, a49
	scratch_load_dwordx4 a[36:39], off, off offset:1124 ; 16-byte Folded Reload
	scratch_load_dwordx4 a[40:43], off, off offset:1140 ; 16-byte Folded Reload
	scratch_load_dwordx4 a[44:47], off, off offset:1156 ; 16-byte Folded Reload
	scratch_load_dwordx4 a[48:51], off, off offset:1172 ; 16-byte Folded Reload
	scratch_load_dwordx4 a[52:55], off, off offset:1188 ; 16-byte Folded Reload
	scratch_load_dwordx4 a[56:59], off, off offset:1204 ; 16-byte Folded Reload
	scratch_load_dwordx4 a[60:63], off, off offset:1220 ; 16-byte Folded Reload
	scratch_load_dwordx4 a[64:67], off, off offset:1236 ; 16-byte Folded Reload
	v_cndmask_b32_e64 v8, v8, v53, s[30:31]
	;; [unrolled: 11-line block ×4, first 2 shown]
	v_cndmask_b32_e64 v20, v20, v14, s[28:29]
	v_cndmask_b32_e64 v22, v22, v32, s[14:15]
	;; [unrolled: 1-line block ×7, first 2 shown]
	s_waitcnt vmcnt(3)
	v_accvgpr_read_b32 v47, a53
	v_cndmask_b32_e64 v21, v8, v47, s[36:37]
	v_cndmask_b32_e64 v8, v179, v117, s[4:5]
	;; [unrolled: 1-line block ×9, first 2 shown]
	v_mul_f64 v[36:37], v[22:23], v[30:31]
	v_fmac_f64_e32 v[36:37], v[20:21], v[28:29]
	v_cndmask_b32_e64 v50, v53, v37, s[44:45]
	v_cndmask_b32_e32 v52, v94, v36, vcc
	v_cndmask_b32_e32 v53, v95, v37, vcc
	scratch_load_dwordx4 v[64:67], off, off offset:2284 ; 16-byte Folded Reload
	scratch_load_dwordx4 v[68:71], off, off offset:2300 ; 16-byte Folded Reload
	;; [unrolled: 1-line block ×8, first 2 shown]
	v_cndmask_b32_e64 v8, v189, v175, s[4:5]
	v_cndmask_b32_e64 v8, v8, v183, s[6:7]
	;; [unrolled: 1-line block ×14, first 2 shown]
	v_accvgpr_read_b32 v14, a222
	v_cndmask_b32_e64 v21, v32, v36, s[44:45]
	v_cndmask_b32_e64 v26, v26, v14, s[16:17]
	v_accvgpr_read_b32 v32, a206
	v_cndmask_b32_e64 v26, v26, v32, s[18:19]
	v_cndmask_b32_e64 v22, v212, v36, s[42:43]
	v_cmp_eq_u32_e64 s[4:5], 2, v5
	v_cmp_eq_u32_e64 s[6:7], 2, v4
	;; [unrolled: 1-line block ×3, first 2 shown]
	s_waitcnt vmcnt(6)
	v_cndmask_b32_e64 v71, v108, v34, s[4:5]
	s_waitcnt vmcnt(4)
	v_cndmask_b32_e64 v76, v109, v35, s[4:5]
	;; [unrolled: 2-line block ×5, first 2 shown]
	v_cmp_eq_u32_e64 s[10:11], 4, v4
	v_cmp_eq_u32_e64 s[12:13], 5, v4
	;; [unrolled: 1-line block ×3, first 2 shown]
	v_cndmask_b32_e64 v48, v48, v36, s[38:39]
	v_cndmask_b32_e64 v49, v49, v37, s[38:39]
	v_mov_b32_e32 v39, v79
	v_cndmask_b32_e64 v8, v8, v39, s[16:17]
	v_cndmask_b32_e64 v27, v8, v33, s[18:19]
	v_mul_f64 v[26:27], v[26:27], v[30:31]
	v_cndmask_b32_e64 v8, v189, v175, s[20:21]
	v_cndmask_b32_e64 v30, v188, v174, s[20:21]
	v_cndmask_b32_e64 v8, v8, v183, s[22:23]
	v_cndmask_b32_e64 v30, v30, v182, s[22:23]
	v_cndmask_b32_e64 v8, v8, v197, s[24:25]
	v_cndmask_b32_e64 v30, v30, v196, s[24:25]
	v_cndmask_b32_e64 v8, v8, v119, s[26:27]
	v_cndmask_b32_e64 v30, v30, v118, s[26:27]
	v_cndmask_b32_e64 v8, v8, v99, s[28:29]
	v_cndmask_b32_e64 v30, v30, v232, s[28:29]
	v_cndmask_b32_e64 v8, v8, v97, s[30:31]
	v_cndmask_b32_e64 v30, v30, v38, s[30:31]
	v_cndmask_b32_e64 v8, v8, v39, s[34:35]
	v_cndmask_b32_e64 v30, v30, v14, s[34:35]
	v_cndmask_b32_e64 v31, v8, v33, s[36:37]
	v_cndmask_b32_e64 v30, v30, v32, s[36:37]
	v_fmac_f64_e32 v[26:27], v[30:31], v[28:29]
	v_lshlrev_b32_e32 v8, 2, v5
	v_mov_b32_e32 v28, 0
	v_add3_u32 v8, v28, v8, 40
	scratch_load_dword v8, v8, off
	v_cndmask_b32_e64 v65, v38, v26, s[44:45]
	v_cndmask_b32_e64 v64, v32, v26, s[40:41]
	;; [unrolled: 1-line block ×5, first 2 shown]
	v_cmp_eq_u32_e64 s[40:41], 1, v5
	v_cmp_eq_u32_e64 s[42:43], 0, v5
	v_cndmask_b32_e64 v70, v99, v27, s[46:47]
	v_cndmask_b32_e64 v79, v114, v36, s[4:5]
	;; [unrolled: 1-line block ×6, first 2 shown]
	s_waitcnt vmcnt(1)
	v_cndmask_b32_e64 v93, v182, v26, s[4:5]
	v_cndmask_b32_e64 v99, v183, v27, s[4:5]
	v_cmp_eq_u32_e64 s[4:5], 1, v4
	v_cmp_eq_u32_e64 s[16:17], 7, v4
	;; [unrolled: 1-line block ×3, first 2 shown]
	v_cndmask_b32_e64 v24, v91, v90, s[4:5]
	v_cndmask_b32_e64 v4, v88, v87, s[4:5]
	;; [unrolled: 1-line block ×14, first 2 shown]
	v_cmp_eq_u32_e64 s[20:21], 1, v12
	v_cndmask_b32_e64 v25, v24, v58, s[18:19]
	v_cndmask_b32_e64 v24, v4, v54, s[18:19]
	;; [unrolled: 1-line block ×3, first 2 shown]
	v_cmp_eq_u32_e64 s[22:23], 2, v12
	v_cmp_eq_u32_e64 s[24:25], 3, v12
	;; [unrolled: 1-line block ×3, first 2 shown]
	v_cndmask_b32_e64 v4, v4, v89, s[22:23]
	v_cndmask_b32_e64 v4, v4, v41, s[24:25]
	;; [unrolled: 1-line block ×3, first 2 shown]
	v_cmp_eq_u32_e64 s[28:29], 5, v12
	v_cmp_eq_u32_e64 s[30:31], 6, v12
	;; [unrolled: 1-line block ×3, first 2 shown]
	v_cndmask_b32_e64 v4, v4, v61, s[28:29]
	v_cndmask_b32_e64 v4, v4, v60, s[30:31]
	;; [unrolled: 1-line block ×3, first 2 shown]
	v_cmp_eq_u32_e64 s[36:37], 8, v12
	v_cndmask_b32_e64 v72, v110, v34, s[40:41]
	v_cndmask_b32_e64 v73, v112, v34, s[42:43]
	;; [unrolled: 1-line block ×11, first 2 shown]
	v_add_f64 v[32:33], v[30:31], -v[24:25]
	v_cndmask_b32_e64 v77, v111, v35, s[40:41]
	v_cndmask_b32_e64 v78, v113, v35, s[42:43]
	v_cndmask_b32_e64 v74, v196, v26, s[38:39]
	v_cndmask_b32_e64 v75, v197, v27, s[38:39]
	v_cndmask_b32_e64 v80, v116, v36, s[40:41]
	v_cndmask_b32_e64 v81, v178, v36, s[42:43]
	v_cndmask_b32_e64 v83, v117, v37, s[40:41]
	v_cndmask_b32_e64 v84, v179, v37, s[42:43]
	v_cndmask_b32_e64 v66, v232, v26, s[46:47]
	v_cndmask_b32_e64 v69, v97, v27, s[44:45]
	v_cndmask_b32_e32 v92, v118, v26, vcc
	v_cndmask_b32_e64 v96, v174, v26, s[40:41]
	v_cndmask_b32_e64 v97, v188, v26, s[42:43]
	v_cndmask_b32_e32 v98, v119, v27, vcc
	v_cndmask_b32_e64 v4, v175, v27, s[40:41]
	v_cndmask_b32_e64 v100, v189, v27, s[42:43]
	s_waitcnt vmcnt(0)
	v_lshlrev_b32_e32 v29, 2, v8
	v_add3_u32 v28, v28, v29, 40
	scratch_load_dword v38, v28, off
	v_add_f64 v[28:29], -v[24:25], 0
	v_div_scale_f64 v[34:35], s[38:39], v[32:33], v[32:33], v[28:29]
	v_rcp_f64_e32 v[36:37], v[34:35]
	v_cmp_eq_u32_e64 s[38:39], 3, v8
	v_cmp_eq_u32_e64 s[40:41], 2, v8
	;; [unrolled: 1-line block ×3, first 2 shown]
	v_fma_f64 v[26:27], -v[34:35], v[36:37], 1.0
	v_fmac_f64_e32 v[36:37], v[36:37], v[26:27]
	v_fma_f64 v[26:27], -v[34:35], v[36:37], 1.0
	v_fmac_f64_e32 v[36:37], v[36:37], v[26:27]
	v_div_scale_f64 v[26:27], vcc, v[28:29], v[32:33], v[28:29]
	v_cmp_eq_u32_e64 s[44:45], 0, v8
	s_waitcnt vmcnt(0)
	scratch_store_dword off, v38, off offset:84
	v_mul_f64 v[38:39], v[26:27], v[36:37]
	v_fma_f64 v[26:27], -v[34:35], v[38:39], v[26:27]
	v_div_fmas_f64 v[26:27], v[26:27], v[36:37], v[38:39]
	v_div_fixup_f64 v[26:27], v[26:27], v[32:33], v[28:29]
	v_cndmask_b32_e64 v32, v78, v77, s[4:5]
	v_cndmask_b32_e64 v28, v78, v77, s[20:21]
	;; [unrolled: 1-line block ×31, first 2 shown]
	v_add_f64 v[34:35], -v[26:27], 1.0
	v_cndmask_b32_e64 v28, v28, v6, s[36:37]
	v_mul_f64 v[36:37], v[32:33], v[34:35]
	v_fmac_f64_e32 v[36:37], v[28:29], v[26:27]
	v_cmp_eq_u32_e32 vcc, 4, v8
	s_nop 1
	v_cndmask_b32_e32 v29, v43, v37, vcc
	v_cndmask_b32_e32 v28, v42, v36, vcc
	scratch_store_dwordx4 off, v[20:23], off offset:228 ; 16-byte Folded Spill
	s_nop 0
	scratch_store_dwordx4 off, v[24:27], off offset:244 ; 16-byte Folded Spill
	scratch_store_dwordx4 off, v[28:31], off offset:260 ; 16-byte Folded Spill
	;; [unrolled: 1-line block ×7, first 2 shown]
	v_cndmask_b32_e64 v29, v45, v37, s[38:39]
	v_cndmask_b32_e64 v28, v44, v36, s[38:39]
	scratch_store_dwordx4 off, v[22:25], off offset:100 ; 16-byte Folded Spill
	s_nop 0
	scratch_store_dwordx4 off, v[26:29], off offset:116 ; 16-byte Folded Spill
	scratch_store_dwordx4 off, v[30:33], off offset:132 ; 16-byte Folded Spill
	;; [unrolled: 1-line block ×7, first 2 shown]
	v_cndmask_b32_e64 v32, v84, v83, s[4:5]
	v_cndmask_b32_e64 v28, v84, v83, s[20:21]
	v_cndmask_b32_e64 v32, v32, v82, s[6:7]
	v_cndmask_b32_e64 v28, v28, v82, s[22:23]
	v_cndmask_b32_e64 v32, v32, v49, s[8:9]
	v_cndmask_b32_e64 v28, v28, v49, s[24:25]
	v_cndmask_b32_e64 v32, v32, v53, s[10:11]
	v_cndmask_b32_e64 v28, v28, v53, s[26:27]
	v_cndmask_b32_e64 v32, v32, v51, s[12:13]
	v_cndmask_b32_e64 v28, v28, v51, s[28:29]
	v_cndmask_b32_e64 v32, v32, v50, s[14:15]
	v_cndmask_b32_e64 v28, v28, v50, s[30:31]
	v_cndmask_b32_e64 v32, v32, v47, s[16:17]
	v_cndmask_b32_e64 v28, v28, v47, s[34:35]
	v_cndmask_b32_e64 v33, v32, v46, s[18:19]
	v_cndmask_b32_e64 v32, v81, v80, s[4:5]
	v_cndmask_b32_e64 v29, v28, v46, s[36:37]
	v_cndmask_b32_e64 v28, v81, v80, s[20:21]
	v_cndmask_b32_e64 v32, v32, v79, s[6:7]
	v_cndmask_b32_e64 v28, v28, v79, s[22:23]
	v_cndmask_b32_e64 v32, v32, v48, s[8:9]
	v_cndmask_b32_e64 v28, v28, v48, s[24:25]
	v_cndmask_b32_e64 v32, v32, v52, s[10:11]
	v_cndmask_b32_e64 v28, v28, v52, s[26:27]
	v_cndmask_b32_e64 v32, v32, v20, s[12:13]
	v_cndmask_b32_e64 v28, v28, v20, s[28:29]
	v_cndmask_b32_e64 v32, v32, v21, s[14:15]
	v_cndmask_b32_e64 v28, v28, v21, s[30:31]
	v_cndmask_b32_e64 v32, v32, v22, s[16:17]
	v_cndmask_b32_e64 v28, v28, v22, s[34:35]
	v_cndmask_b32_e64 v32, v32, v23, s[18:19]
	v_mul_f64 v[24:25], v[24:25], v[34:35]
	v_cndmask_b32_e64 v28, v28, v23, s[36:37]
	v_mul_f64 v[38:39], v[32:33], v[34:35]
	v_fmac_f64_e32 v[24:25], v[30:31], v[26:27]
	v_cndmask_b32_e64 v30, v100, v4, s[4:5]
	v_fmac_f64_e32 v[38:39], v[28:29], v[26:27]
	v_cndmask_b32_e64 v28, v100, v4, s[20:21]
	v_cndmask_b32_e64 v30, v30, v99, s[6:7]
	;; [unrolled: 1-line block ×31, first 2 shown]
	v_mul_f64 v[30:31], v[30:31], v[34:35]
	v_cmp_eq_u32_e64 s[8:9], 8, v8
	v_fmac_f64_e32 v[30:31], v[28:29], v[26:27]
	v_cndmask_b32_e32 v95, v53, v39, vcc
	v_cndmask_b32_e64 v19, v19, v37, s[8:9]
	v_cndmask_b32_e32 v94, v52, v38, vcc
	v_cndmask_b32_e64 v179, v84, v39, s[44:45]
	v_cndmask_b32_e32 v85, v63, v25, vcc
	v_cndmask_b32_e32 v84, v62, v24, vcc
	v_cndmask_b32_e64 v127, v41, v25, s[38:39]
	v_cndmask_b32_e64 v126, v40, v24, s[38:39]
	v_cndmask_b32_e64 v181, v89, v25, s[40:41]
	v_cndmask_b32_e64 v180, v86, v24, s[40:41]
	v_cndmask_b32_e64 v255, v90, v25, s[42:43]
	v_cndmask_b32_e64 v254, v87, v24, s[42:43]
	v_cndmask_b32_e64 v185, v91, v25, s[44:45]
	v_cndmask_b32_e64 v184, v88, v24, s[44:45]
	v_cndmask_b32_e32 v119, v98, v31, vcc
	v_cndmask_b32_e32 v118, v92, v30, vcc
	v_cndmask_b32_e64 v197, v75, v31, s[38:39]
	v_cndmask_b32_e64 v196, v74, v30, s[38:39]
	;; [unrolled: 1-line block ×8, first 2 shown]
	v_cmp_eq_u32_e32 vcc, 7, v8
	v_cmp_eq_u32_e64 s[4:5], 6, v8
	v_cmp_eq_u32_e64 s[6:7], 5, v8
	scratch_store_dwordx4 off, v[2:5], off offset:1892 ; 16-byte Folded Spill
	s_nop 0
	scratch_store_dwordx4 off, v[6:9], off offset:1908 ; 16-byte Folded Spill
	scratch_store_dwordx4 off, v[10:13], off offset:1924 ; 16-byte Folded Spill
	;; [unrolled: 1-line block ×7, first 2 shown]
	v_cndmask_b32_e64 v109, v76, v37, s[40:41]
	v_cndmask_b32_e64 v108, v71, v36, s[40:41]
	;; [unrolled: 1-line block ×14, first 2 shown]
	scratch_store_dwordx4 off, v[10:13], off offset:2148 ; 16-byte Folded Spill
	s_nop 0
	scratch_store_dwordx4 off, v[14:17], off offset:2164 ; 16-byte Folded Spill
	scratch_store_dwordx4 off, v[18:21], off offset:2180 ; 16-byte Folded Spill
	scratch_store_dwordx4 off, v[22:25], off offset:2196 ; 16-byte Folded Spill
	scratch_store_dwordx4 off, v[26:29], off offset:2212 ; 16-byte Folded Spill
	scratch_store_dwordx4 off, v[30:33], off offset:2228 ; 16-byte Folded Spill
	scratch_store_dwordx4 off, v[34:37], off offset:2244 ; 16-byte Folded Spill
	scratch_store_dwordx4 off, v[38:41], off offset:2260 ; 16-byte Folded Spill
	v_cndmask_b32_e32 v19, v18, v37, vcc
	scratch_store_dwordx4 off, v[4:7], off offset:2020 ; 16-byte Folded Spill
	s_nop 0
	scratch_store_dwordx4 off, v[8:11], off offset:2036 ; 16-byte Folded Spill
	scratch_store_dwordx4 off, v[12:15], off offset:2052 ; 16-byte Folded Spill
	;; [unrolled: 1-line block ×7, first 2 shown]
	v_cndmask_b32_e32 v18, v9, v36, vcc
	scratch_store_dwordx4 off, v[4:7], off offset:1508 ; 16-byte Folded Spill
	s_nop 0
	scratch_store_dwordx4 off, v[8:11], off offset:1524 ; 16-byte Folded Spill
	scratch_store_dwordx4 off, v[12:15], off offset:1540 ; 16-byte Folded Spill
	;; [unrolled: 1-line block ×7, first 2 shown]
	v_cndmask_b32_e64 v17, v17, v37, s[4:5]
	scratch_store_dwordx4 off, v[4:7], off offset:1380 ; 16-byte Folded Spill
	s_nop 0
	scratch_store_dwordx4 off, v[8:11], off offset:1396 ; 16-byte Folded Spill
	scratch_store_dwordx4 off, v[12:15], off offset:1412 ; 16-byte Folded Spill
	;; [unrolled: 1-line block ×7, first 2 shown]
	v_cndmask_b32_e64 v18, v13, v36, s[4:5]
	scratch_store_dwordx4 off, v[6:9], off offset:1636 ; 16-byte Folded Spill
	s_nop 0
	scratch_store_dwordx4 off, v[10:13], off offset:1652 ; 16-byte Folded Spill
	scratch_store_dwordx4 off, v[14:17], off offset:1668 ; 16-byte Folded Spill
	;; [unrolled: 1-line block ×7, first 2 shown]
	scratch_load_dword v40, off, off offset:96 ; 4-byte Folded Reload
	v_cndmask_b32_e64 v13, v16, v37, s[6:7]
	v_cndmask_b32_e64 v16, v15, v36, s[6:7]
	v_accvgpr_write_b32 a181, v13
	scratch_store_dwordx4 off, v[6:9], off offset:1764 ; 16-byte Folded Spill
	s_nop 0
	scratch_store_dwordx4 off, v[10:13], off offset:1780 ; 16-byte Folded Spill
	scratch_store_dwordx4 off, v[14:17], off offset:1796 ; 16-byte Folded Spill
	;; [unrolled: 1-line block ×7, first 2 shown]
	v_cndmask_b32_e64 v17, v46, v39, s[8:9]
	scratch_store_dwordx4 off, v[0:3], off offset:740 ; 16-byte Folded Spill
	s_nop 0
	scratch_store_dwordx4 off, v[4:7], off offset:756 ; 16-byte Folded Spill
	scratch_store_dwordx4 off, v[8:11], off offset:772 ; 16-byte Folded Spill
	;; [unrolled: 1-line block ×7, first 2 shown]
	v_cndmask_b32_e32 v15, v47, v39, vcc
	v_cndmask_b32_e64 v18, v23, v38, s[8:9]
	v_accvgpr_write_b32 a34, v18
	scratch_store_dwordx4 off, v[0:3], off offset:1124 ; 16-byte Folded Spill
	s_nop 0
	scratch_store_dwordx4 off, v[4:7], off offset:1140 ; 16-byte Folded Spill
	scratch_store_dwordx4 off, v[8:11], off offset:1156 ; 16-byte Folded Spill
	;; [unrolled: 1-line block ×7, first 2 shown]
	v_cndmask_b32_e64 v13, v50, v39, s[4:5]
	v_cndmask_b32_e32 v212, v22, v38, vcc
	scratch_store_dwordx4 off, v[0:3], off offset:996 ; 16-byte Folded Spill
	s_nop 0
	scratch_store_dwordx4 off, v[4:7], off offset:1012 ; 16-byte Folded Spill
	scratch_store_dwordx4 off, v[8:11], off offset:1028 ; 16-byte Folded Spill
	;; [unrolled: 1-line block ×7, first 2 shown]
	v_cndmask_b32_e64 v13, v51, v39, s[6:7]
	v_cndmask_b32_e64 v32, v21, v38, s[4:5]
	scratch_store_dwordx4 off, v[2:5], off offset:1252 ; 16-byte Folded Spill
	s_nop 0
	scratch_store_dwordx4 off, v[6:9], off offset:1268 ; 16-byte Folded Spill
	scratch_store_dwordx4 off, v[10:13], off offset:1284 ; 16-byte Folded Spill
	scratch_store_dwordx4 off, v[14:17], off offset:1300 ; 16-byte Folded Spill
	scratch_store_dwordx4 off, v[18:21], off offset:1316 ; 16-byte Folded Spill
	scratch_store_dwordx4 off, v[22:25], off offset:1332 ; 16-byte Folded Spill
	scratch_store_dwordx4 off, v[26:29], off offset:1348 ; 16-byte Folded Spill
	scratch_store_dwordx4 off, v[30:33], off offset:1364 ; 16-byte Folded Spill
	v_cndmask_b32_e64 v16, v20, v38, s[6:7]
	scratch_store_dwordx4 off, v[6:9], off offset:868 ; 16-byte Folded Spill
	s_nop 0
	scratch_store_dwordx4 off, v[10:13], off offset:884 ; 16-byte Folded Spill
	scratch_store_dwordx4 off, v[14:17], off offset:900 ; 16-byte Folded Spill
	scratch_store_dwordx4 off, v[18:21], off offset:916 ; 16-byte Folded Spill
	scratch_store_dwordx4 off, v[22:25], off offset:932 ; 16-byte Folded Spill
	scratch_store_dwordx4 off, v[26:29], off offset:948 ; 16-byte Folded Spill
	scratch_store_dwordx4 off, v[30:33], off offset:964 ; 16-byte Folded Spill
	scratch_store_dwordx4 off, v[34:37], off offset:980 ; 16-byte Folded Spill
	;; [unrolled: 10-line block ×4, first 2 shown]
	v_cndmask_b32_e32 v15, v59, v25, vcc
	v_cndmask_b32_e32 v18, v55, v24, vcc
	v_cndmask_b32_e64 v13, v60, v25, s[4:5]
	v_cndmask_b32_e64 v16, v56, v24, s[4:5]
	v_accvgpr_write_b32 a97, v15
	v_accvgpr_write_b32 a64, v18
	;; [unrolled: 1-line block ×3, first 2 shown]
	scratch_store_dwordx4 off, v[4:7], off offset:484 ; 16-byte Folded Spill
	s_nop 0
	scratch_store_dwordx4 off, v[8:11], off offset:500 ; 16-byte Folded Spill
	scratch_store_dwordx4 off, v[12:15], off offset:516 ; 16-byte Folded Spill
	;; [unrolled: 1-line block ×7, first 2 shown]
	v_cndmask_b32_e64 v13, v61, v25, s[6:7]
	v_cndmask_b32_e64 v17, v67, v31, s[8:9]
	v_cndmask_b32_e64 v16, v64, v30, s[8:9]
	v_cndmask_b32_e32 v15, v68, v31, vcc
	v_accvgpr_write_b32 a123, v13
	v_cndmask_b32_e64 v152, v57, v24, s[6:7]
	v_accvgpr_write_b32 a17, v17
	v_accvgpr_write_b32 a206, v16
	scratch_store_dwordx4 off, v[0:3], off offset:2284 ; 16-byte Folded Spill
	s_nop 0
	scratch_store_dwordx4 off, v[4:7], off offset:2300 ; 16-byte Folded Spill
	scratch_store_dwordx4 off, v[8:11], off offset:2316 ; 16-byte Folded Spill
	;; [unrolled: 1-line block ×7, first 2 shown]
	v_cndmask_b32_e32 v14, v14, v30, vcc
	v_cndmask_b32_e64 v13, v69, v31, s[4:5]
	v_accvgpr_write_b32 a222, v14
	v_accvgpr_write_b32 a157, v13
	v_cndmask_b32_e64 v14, v65, v30, s[4:5]
	v_cndmask_b32_e64 v13, v70, v31, s[6:7]
	v_accvgpr_write_b32 a236, v14
	v_accvgpr_write_b32 a169, v13
	v_cndmask_b32_e64 v232, v66, v30, s[6:7]
.LBB2_61:
	s_or_b64 exec, exec, s[52:53]
	scratch_store_dword off, v7, off offset:80
	s_mov_b64 s[16:17], exec
	scratch_load_dwordx4 v[50:53], off, off offset:2284 ; 16-byte Folded Reload
	scratch_load_dwordx4 v[54:57], off, off offset:2300 ; 16-byte Folded Reload
	;; [unrolled: 1-line block ×8, first 2 shown]
	s_and_b64 s[4:5], s[16:17], s[0:1]
	s_waitcnt vmcnt(4)
	v_mov_b32_e32 v41, v65
	s_mov_b64 exec, s[4:5]
	s_cbranch_execz .LBB2_70
; %bb.62:
	s_mov_b64 s[18:19], 0
	s_branch .LBB2_64
.LBB2_63:                               ;   in Loop: Header=BB2_64 Depth=1
	s_or_b64 exec, exec, s[6:7]
	s_waitcnt vmcnt(0)
	v_cmp_gt_i32_e32 vcc, 0, v4
	s_or_b64 s[18:19], vcc, s[18:19]
	v_mov_b32_e32 v10, v4
	s_andn2_b64 exec, exec, s[18:19]
	s_cbranch_execz .LBB2_70
.LBB2_64:                               ; =>This Inner Loop Header: Depth=1
	scratch_load_dwordx4 v[50:53], off, off offset:484 ; 16-byte Folded Reload
	scratch_load_dwordx4 v[54:57], off, off offset:500 ; 16-byte Folded Reload
	;; [unrolled: 1-line block ×8, first 2 shown]
	v_cmp_eq_u32_e32 vcc, 1, v10
	v_cmp_eq_u32_e64 s[4:5], 2, v10
	v_cmp_eq_u32_e64 s[6:7], 3, v10
	v_cndmask_b32_e32 v6, v184, v254, vcc
	v_cndmask_b32_e64 v6, v6, v180, s[4:5]
	v_cmp_eq_u32_e64 s[8:9], 4, v10
	v_cndmask_b32_e64 v6, v6, v126, s[6:7]
	v_cmp_eq_u32_e64 s[10:11], 5, v10
	;; [unrolled: 2-line block ×3, first 2 shown]
	v_cndmask_b32_e64 v6, v6, v152, s[10:11]
	v_cndmask_b32_e32 v4, v185, v255, vcc
	v_cndmask_b32_e64 v4, v4, v181, s[4:5]
	v_cndmask_b32_e64 v4, v4, v127, s[6:7]
	;; [unrolled: 1-line block ×3, first 2 shown]
	v_accvgpr_read_b32 v13, a123
	v_cndmask_b32_e64 v4, v4, v13, s[10:11]
	v_accvgpr_read_b32 v13, a111
	v_cndmask_b32_e64 v4, v4, v13, s[12:13]
	v_cmp_eq_u32_e64 s[14:15], 7, v10
	v_accvgpr_read_b32 v15, a97
	v_cmp_eq_u32_e32 vcc, 8, v10
	v_cndmask_b32_e64 v4, v4, v15, s[14:15]
	v_accvgpr_read_b32 v18, a64
	s_mov_b64 s[4:5], 0
	s_waitcnt vmcnt(4)
	v_cndmask_b32_e64 v6, v6, v62, s[12:13]
	scratch_load_dwordx4 v[50:53], off, off offset:356 ; 16-byte Folded Reload
	scratch_load_dwordx4 v[54:57], off, off offset:372 ; 16-byte Folded Reload
	;; [unrolled: 1-line block ×8, first 2 shown]
	v_cndmask_b32_e64 v6, v6, v18, s[14:15]
	s_waitcnt vmcnt(3)
	v_cndmask_b32_e32 v7, v4, v67, vcc
	scratch_load_dwordx4 v[50:53], off, off offset:612 ; 16-byte Folded Reload
	scratch_load_dwordx4 v[54:57], off, off offset:628 ; 16-byte Folded Reload
	;; [unrolled: 1-line block ×8, first 2 shown]
	s_waitcnt vmcnt(3)
	v_cndmask_b32_e32 v6, v6, v66, vcc
	v_cmp_ngt_f64_e32 vcc, 0, v[6:7]
	v_lshl_add_u32 v7, v10, 2, v40
	scratch_load_dword v4, v7, off
                                        ; implicit-def: $vgpr6
	s_and_saveexec_b64 s[6:7], vcc
	s_xor_b64 s[6:7], exec, s[6:7]
	s_cbranch_execnz .LBB2_67
; %bb.65:                               ;   in Loop: Header=BB2_64 Depth=1
	s_andn2_saveexec_b64 s[6:7], s[6:7]
	s_cbranch_execnz .LBB2_68
.LBB2_66:                               ;   in Loop: Header=BB2_64 Depth=1
	s_or_b64 exec, exec, s[6:7]
	s_and_saveexec_b64 s[6:7], s[4:5]
	s_cbranch_execz .LBB2_63
	s_branch .LBB2_69
.LBB2_67:                               ;   in Loop: Header=BB2_64 Depth=1
	scratch_load_dword v6, off, off offset:80
                                        ; implicit-def: $vgpr7
	s_waitcnt vmcnt(0)
	v_cmp_eq_u32_e32 vcc, -1, v6
	v_mov_b32_e32 v6, 0x50
	s_and_b64 s[4:5], vcc, exec
	s_andn2_saveexec_b64 s[6:7], s[6:7]
	s_cbranch_execz .LBB2_66
.LBB2_68:                               ;   in Loop: Header=BB2_64 Depth=1
	scratch_load_dword v9, off, off offset:84
	v_mov_b32_e32 v6, 0x54
	s_or_b64 s[4:5], s[4:5], exec
	s_waitcnt vmcnt(0)
	scratch_store_dword v7, v9, off
	s_or_b64 exec, exec, s[6:7]
	s_and_saveexec_b64 s[6:7], s[4:5]
	s_cbranch_execz .LBB2_63
.LBB2_69:                               ;   in Loop: Header=BB2_64 Depth=1
	scratch_store_dword v6, v10, off
	s_branch .LBB2_63
.LBB2_70:
	s_or_b64 exec, exec, s[16:17]
	s_and_saveexec_b64 s[4:5], s[2:3]
	s_cbranch_execz .LBB2_72
; %bb.71:
	v_cmp_gt_f64_e32 vcc, 0, v[0:1]
	v_lshlrev_b32_e32 v0, 2, v8
	v_mov_b32_e32 v1, 0
	v_cmp_gt_f64_e64 s[2:3], 0, v[2:3]
	s_and_b64 s[0:1], s[0:1], vcc
	v_lshlrev_b32_e32 v3, 2, v5
	v_lshlrev_b32_e32 v4, 2, v11
	v_add3_u32 v0, v1, v0, 40
	s_or_b64 s[0:1], s[2:3], s[0:1]
	v_add3_u32 v3, v1, v3, 40
	v_add3_u32 v1, v1, v4, 40
	v_cndmask_b32_e64 v2, v12, -1, s[0:1]
	scratch_store_dword v1, v5, off
	scratch_store_dword v3, v8, off
	;; [unrolled: 1-line block ×3, first 2 shown]
.LBB2_72:
	s_or_b64 exec, exec, s[4:5]
	scratch_load_dwordx4 v[0:3], off, off offset:40
	scratch_load_dwordx4 v[4:7], off, off offset:56
	v_accvgpr_read_b32 v11, a169
	v_accvgpr_read_b32 v13, a157
	;; [unrolled: 1-line block ×6, first 2 shown]
	v_mov_b32_e32 v10, -1
	s_waitcnt vmcnt(1)
	scratch_store_dwordx4 off, v[0:3], off
	s_waitcnt vmcnt(1)
	scratch_store_dwordx4 off, v[4:7], off offset:16
	scratch_load_dword v0, off, off offset:72
	scratch_load_dword v36, off, off offset:80
	;; [unrolled: 1-line block ×3, first 2 shown]
	v_mov_b64_e32 v[4:5], -1
	v_mov_b64_e32 v[6:7], v[4:5]
	s_waitcnt vmcnt(2)
	scratch_store_dword off, v0, off offset:32
	s_waitcnt vmcnt(2)
	v_cmp_eq_u32_e32 vcc, 1, v36
	v_cmp_eq_u32_e64 s[0:1], 2, v36
	v_cmp_eq_u32_e64 s[2:3], 3, v36
	v_cndmask_b32_e32 v0, v189, v175, vcc
	v_cndmask_b32_e32 v1, v188, v174, vcc
	v_cndmask_b32_e64 v0, v0, v183, s[0:1]
	v_cndmask_b32_e64 v1, v1, v182, s[0:1]
	;; [unrolled: 1-line block ×3, first 2 shown]
	v_cmp_eq_u32_e32 vcc, 4, v36
	v_cndmask_b32_e64 v1, v1, v196, s[2:3]
	v_cmp_eq_u32_e64 s[0:1], 5, v36
	v_cndmask_b32_e32 v0, v0, v119, vcc
	v_cndmask_b32_e32 v1, v1, v118, vcc
	v_cndmask_b32_e64 v0, v0, v11, s[0:1]
	v_cmp_eq_u32_e32 vcc, 6, v36
	v_cndmask_b32_e64 v1, v1, v232, s[0:1]
	v_cmp_eq_u32_e64 s[0:1], 7, v36
	v_cndmask_b32_e32 v0, v0, v13, vcc
	v_cndmask_b32_e32 v1, v1, v12, vcc
	v_cndmask_b32_e64 v0, v0, v41, s[0:1]
	v_cndmask_b32_e64 v1, v1, v14, s[0:1]
	v_cmp_eq_u32_e32 vcc, 8, v36
	v_cmp_lt_i32_e64 s[0:1], -1, v36
	v_mov_b32_e32 v11, -1
	v_cndmask_b32_e32 v3, v0, v17, vcc
	v_cndmask_b32_e32 v2, v1, v16, vcc
	v_mov_b64_e32 v[0:1], 0
	scratch_store_dword off, v36, off offset:88
	s_waitcnt vmcnt(2)
	scratch_store_dword off, v37, off offset:92
	s_and_saveexec_b64 s[10:11], s[0:1]
	s_cbranch_execz .LBB2_76
; %bb.73:
	s_mov_b64 s[12:13], 0
	v_mov_b32_e32 v10, -1
	v_mov_b32_e32 v5, v36
	v_mov_b32_e32 v4, -1
	v_mov_b32_e32 v6, -1
	;; [unrolled: 1-line block ×3, first 2 shown]
	v_mov_b64_e32 v[8:9], v[2:3]
	v_accvgpr_read_b32 v17, a17
	v_accvgpr_read_b32 v19, a157
	;; [unrolled: 1-line block ×6, first 2 shown]
.LBB2_74:                               ; =>This Inner Loop Header: Depth=1
	v_lshl_add_u32 v0, v5, 2, v40
	scratch_load_dword v7, v0, off
	s_waitcnt vmcnt(0)
	v_cmp_gt_i32_e32 vcc, 0, v7
	s_nop 1
	v_cndmask_b32_e32 v15, v7, v36, vcc
	v_cmp_eq_u32_e64 s[2:3], 1, v15
	v_cmp_eq_u32_e64 s[4:5], 2, v15
	;; [unrolled: 1-line block ×3, first 2 shown]
	v_cndmask_b32_e64 v0, v189, v175, s[2:3]
	v_cndmask_b32_e64 v1, v188, v174, s[2:3]
	;; [unrolled: 1-line block ×5, first 2 shown]
	v_cmp_eq_u32_e64 s[2:3], 4, v15
	v_cndmask_b32_e64 v1, v1, v196, s[6:7]
	v_cmp_eq_u32_e64 s[4:5], 5, v15
	v_cndmask_b32_e64 v0, v0, v119, s[2:3]
	v_cndmask_b32_e64 v1, v1, v118, s[2:3]
	;; [unrolled: 1-line block ×3, first 2 shown]
	v_cmp_eq_u32_e64 s[2:3], 6, v15
	v_cndmask_b32_e64 v1, v1, v232, s[4:5]
	v_cmp_eq_u32_e64 s[4:5], 7, v15
	v_cndmask_b32_e64 v0, v0, v19, s[2:3]
	v_cndmask_b32_e64 v1, v1, v18, s[2:3]
	;; [unrolled: 1-line block ×4, first 2 shown]
	v_cmp_eq_u32_e64 s[2:3], 8, v15
	s_nop 1
	v_cndmask_b32_e64 v13, v0, v17, s[2:3]
	v_cndmask_b32_e64 v12, v1, v16, s[2:3]
	v_mov_b64_e32 v[0:1], v[8:9]
	v_cmp_le_f64_e64 s[2:3], 0, v[0:1]
	v_cmp_gt_f64_e64 s[4:5], 0, v[0:1]
	v_cmp_gt_f64_e64 s[6:7], 0, v[12:13]
	v_cmp_le_f64_e64 s[8:9], 0, v[12:13]
	s_and_b64 s[2:3], s[2:3], s[6:7]
	s_and_b64 s[4:5], s[4:5], s[8:9]
	v_cndmask_b32_e64 v6, v6, v15, s[2:3]
	v_cndmask_b32_e64 v11, v11, v15, s[4:5]
	;; [unrolled: 1-line block ×4, first 2 shown]
	s_or_b64 s[12:13], vcc, s[12:13]
	v_mov_b32_e32 v5, v7
	v_mov_b64_e32 v[8:9], v[12:13]
	s_andn2_b64 exec, exec, s[12:13]
	s_cbranch_execnz .LBB2_74
; %bb.75:
	s_or_b64 exec, exec, s[12:13]
.LBB2_76:
	s_or_b64 exec, exec, s[10:11]
	v_cmp_lt_i32_e64 s[2:3], -1, v10
	v_mov_b32_e32 v12, -1
	v_mov_b32_e32 v5, -1
	;; [unrolled: 1-line block ×3, first 2 shown]
	s_and_saveexec_b64 s[52:53], s[2:3]
	s_cbranch_execz .LBB2_78
; %bb.77:
	v_accvgpr_read_b32 v33, a17
	scratch_load_dwordx4 a[0:3], off, off offset:100 ; 16-byte Folded Reload
	scratch_load_dwordx4 a[4:7], off, off offset:116 ; 16-byte Folded Reload
	;; [unrolled: 1-line block ×16, first 2 shown]
	v_cmp_eq_u32_e64 s[4:5], 1, v6
	v_cmp_eq_u32_e64 s[6:7], 2, v6
	;; [unrolled: 1-line block ×3, first 2 shown]
	v_cndmask_b32_e64 v5, v189, v175, s[4:5]
	v_cndmask_b32_e64 v5, v5, v183, s[6:7]
	;; [unrolled: 1-line block ×3, first 2 shown]
	v_cmp_eq_u32_e64 s[10:11], 4, v6
	v_cmp_eq_u32_e64 s[12:13], 5, v6
	v_accvgpr_read_b32 v87, a169
	v_cndmask_b32_e64 v5, v5, v119, s[10:11]
	v_cndmask_b32_e64 v5, v5, v87, s[12:13]
	v_cmp_eq_u32_e64 s[14:15], 6, v6
	v_accvgpr_read_b32 v83, a157
	v_cmp_eq_u32_e64 s[16:17], 7, v6
	v_cndmask_b32_e64 v5, v5, v83, s[14:15]
	v_cmp_eq_u32_e64 s[18:19], 8, v6
	v_cndmask_b32_e64 v5, v5, v41, s[16:17]
	;; [unrolled: 2-line block ×3, first 2 shown]
	v_cndmask_b32_e64 v7, v5, v33, s[18:19]
	v_cndmask_b32_e64 v5, v189, v175, s[20:21]
	v_cmp_eq_u32_e64 s[22:23], 2, v10
	v_cndmask_b32_e64 v8, v188, v174, s[20:21]
	v_cndmask_b32_e64 v6, v6, v182, s[6:7]
	v_cndmask_b32_e64 v5, v5, v183, s[22:23]
	v_cmp_eq_u32_e64 s[24:25], 3, v10
	v_cndmask_b32_e64 v8, v8, v182, s[22:23]
	;; [unrolled: 4-line block ×4, first 2 shown]
	v_cndmask_b32_e64 v6, v6, v232, s[12:13]
	v_accvgpr_read_b32 v86, a236
	v_cndmask_b32_e64 v5, v5, v87, s[28:29]
	v_cmp_eq_u32_e64 s[30:31], 6, v10
	v_cndmask_b32_e64 v8, v8, v232, s[28:29]
	v_cndmask_b32_e64 v6, v6, v86, s[14:15]
	v_accvgpr_read_b32 v82, a222
	v_cndmask_b32_e64 v5, v5, v83, s[30:31]
	v_cmp_eq_u32_e64 s[36:37], 7, v10
	v_cndmask_b32_e64 v8, v8, v86, s[30:31]
	v_cndmask_b32_e64 v6, v6, v82, s[16:17]
	v_accvgpr_read_b32 v40, a206
	v_cndmask_b32_e64 v5, v5, v41, s[36:37]
	v_cndmask_b32_e64 v8, v8, v82, s[36:37]
	v_cmp_eq_u32_e64 s[38:39], 8, v10
	v_cndmask_b32_e64 v6, v6, v40, s[18:19]
	v_add_f64 v[16:17], -v[6:7], 0
	v_cndmask_b32_e64 v9, v5, v33, s[38:39]
	v_cndmask_b32_e64 v8, v8, v40, s[38:39]
	v_add_f64 v[18:19], v[8:9], -v[6:7]
	v_div_scale_f64 v[20:21], s[34:35], v[18:19], v[18:19], v[16:17]
	v_rcp_f64_e32 v[22:23], v[20:21]
	v_cndmask_b32_e64 v5, v113, v111, s[20:21]
	v_cndmask_b32_e64 v13, v112, v110, s[20:21]
	;; [unrolled: 1-line block ×3, first 2 shown]
	v_fma_f64 v[24:25], -v[20:21], v[22:23], 1.0
	v_fmac_f64_e32 v[22:23], v[22:23], v[24:25]
	v_fma_f64 v[24:25], -v[20:21], v[22:23], 1.0
	v_fmac_f64_e32 v[22:23], v[22:23], v[24:25]
	v_div_scale_f64 v[24:25], vcc, v[16:17], v[18:19], v[16:17]
	v_mul_f64 v[26:27], v[24:25], v[22:23]
	v_fma_f64 v[20:21], -v[20:21], v[26:27], v[24:25]
	v_cndmask_b32_e64 v13, v13, v108, s[22:23]
	s_nop 0
	v_div_fmas_f64 v[20:21], v[20:21], v[22:23], v[26:27]
	v_div_fixup_f64 v[34:35], v[20:21], v[18:19], v[16:17]
	v_accvgpr_read_b32 v31, a181
	v_add_f64 v[38:39], -v[34:35], 1.0
	v_cmp_eq_u32_e64 s[42:43], 7, v37
	v_cmp_eq_u32_e64 s[40:41], 8, v37
	;; [unrolled: 1-line block ×4, first 2 shown]
	s_waitcnt vmcnt(14)
	v_accvgpr_read_b32 v25, a7
	s_waitcnt vmcnt(5)
	v_mov_b64_e32 v[26:27], v[58:59]
	scratch_load_dwordx4 v[50:53], off, off offset:1380 ; 16-byte Folded Reload
	scratch_load_dwordx4 v[54:57], off, off offset:1396 ; 16-byte Folded Reload
	;; [unrolled: 1-line block ×8, first 2 shown]
	v_accvgpr_read_b32 v24, a6
	v_cndmask_b32_e64 v5, v5, v25, s[24:25]
	v_cndmask_b32_e64 v13, v13, v24, s[24:25]
	;; [unrolled: 1-line block ×5, first 2 shown]
	v_cmp_eq_u32_e64 s[34:35], 3, v37
	v_cmp_eq_u32_e32 vcc, 4, v37
	v_mul_f64 v[6:7], v[6:7], v[38:39]
	v_fmac_f64_e32 v[6:7], v[8:9], v[34:35]
	v_mov_b32_e32 v8, 0
	v_cndmask_b32_e32 v98, v119, v7, vcc
	v_cndmask_b32_e32 v92, v118, v6, vcc
	s_waitcnt vmcnt(4)
	v_mov_b32_e32 v29, v63
	scratch_load_dwordx4 v[50:53], off, off offset:2020 ; 16-byte Folded Reload
	scratch_load_dwordx4 v[54:57], off, off offset:2036 ; 16-byte Folded Reload
	scratch_load_dwordx4 v[58:61], off, off offset:2052 ; 16-byte Folded Reload
	scratch_load_dwordx4 v[62:65], off, off offset:2068 ; 16-byte Folded Reload
	scratch_load_dwordx4 v[66:69], off, off offset:2084 ; 16-byte Folded Reload
	scratch_load_dwordx4 v[70:73], off, off offset:2100 ; 16-byte Folded Reload
	scratch_load_dwordx4 v[74:77], off, off offset:2116 ; 16-byte Folded Reload
	scratch_load_dwordx4 v[78:81], off, off offset:2132 ; 16-byte Folded Reload
	v_cndmask_b32_e64 v5, v5, v29, s[30:31]
	s_waitcnt vmcnt(4)
	v_mov_b32_e32 v23, v65
	scratch_load_dwordx4 v[50:53], off, off offset:1764 ; 16-byte Folded Reload
	scratch_load_dwordx4 v[54:57], off, off offset:1780 ; 16-byte Folded Reload
	scratch_load_dwordx4 v[58:61], off, off offset:1796 ; 16-byte Folded Reload
	scratch_load_dwordx4 v[62:65], off, off offset:1812 ; 16-byte Folded Reload
	scratch_load_dwordx4 v[66:69], off, off offset:1828 ; 16-byte Folded Reload
	scratch_load_dwordx4 v[70:73], off, off offset:1844 ; 16-byte Folded Reload
	scratch_load_dwordx4 v[74:77], off, off offset:1860 ; 16-byte Folded Reload
	scratch_load_dwordx4 v[78:81], off, off offset:1876 ; 16-byte Folded Reload
	v_cndmask_b32_e64 v5, v5, v23, s[36:37]
	;; [unrolled: 11-line block ×5, first 2 shown]
	s_waitcnt vmcnt(3)
	v_mov_b32_e32 v21, v67
	scratch_load_dwordx4 v[50:53], off, off offset:2148 ; 16-byte Folded Reload
	scratch_load_dwordx4 v[54:57], off, off offset:2164 ; 16-byte Folded Reload
	;; [unrolled: 1-line block ×16, first 2 shown]
	v_cndmask_b32_e64 v17, v5, v21, s[38:39]
	v_cndmask_b32_e64 v5, v113, v111, s[4:5]
	;; [unrolled: 1-line block ×13, first 2 shown]
	s_waitcnt vmcnt(12)
	v_accvgpr_read_b32 v65, a123
	v_accvgpr_read_b32 v63, a111
	;; [unrolled: 1-line block ×4, first 2 shown]
	s_waitcnt vmcnt(11)
	v_cndmask_b32_e64 v67, v40, v6, s[40:41]
	s_waitcnt vmcnt(9)
	v_cndmask_b32_e64 v74, v196, v6, s[34:35]
	v_cndmask_b32_e64 v75, v197, v7, s[34:35]
	;; [unrolled: 1-line block ×8, first 2 shown]
	v_mov_b32_e32 v20, v66
	s_waitcnt vmcnt(5)
	v_accvgpr_read_b32 v55, a11
	scratch_load_dwordx4 a[0:3], off, off offset:996 ; 16-byte Folded Reload
	scratch_load_dwordx4 a[4:7], off, off offset:1012 ; 16-byte Folded Reload
	;; [unrolled: 1-line block ×8, first 2 shown]
	v_cndmask_b32_e64 v16, v13, v20, s[38:39]
	v_cndmask_b32_e64 v13, v112, v110, s[4:5]
	;; [unrolled: 1-line block ×9, first 2 shown]
	v_mul_f64 v[42:43], v[18:19], v[38:39]
	v_fmac_f64_e32 v[42:43], v[16:17], v[34:35]
	v_cndmask_b32_e64 v16, v14, v42, s[42:43]
	v_cndmask_b32_e64 v13, v178, v116, s[20:21]
	;; [unrolled: 1-line block ×9, first 2 shown]
	v_accvgpr_read_b32 v28, a34
	v_cndmask_b32_e64 v51, v24, v42, s[34:35]
	v_cndmask_b32_e64 v52, v25, v43, s[34:35]
	;; [unrolled: 1-line block ×3, first 2 shown]
	v_cndmask_b32_e32 v31, v26, v42, vcc
	v_cndmask_b32_e32 v50, v27, v43, vcc
	v_cndmask_b32_e64 v17, v22, v42, s[44:45]
	v_cndmask_b32_e64 v22, v21, v43, s[40:41]
	;; [unrolled: 1-line block ×3, first 2 shown]
	s_waitcnt vmcnt(4)
	v_accvgpr_read_b32 v53, a13
	scratch_load_dwordx4 a[0:3], off, off offset:1124 ; 16-byte Folded Reload
	scratch_load_dwordx4 a[4:7], off, off offset:1140 ; 16-byte Folded Reload
	scratch_load_dwordx4 a[8:11], off, off offset:1156 ; 16-byte Folded Reload
	scratch_load_dwordx4 a[12:15], off, off offset:1172 ; 16-byte Folded Reload
	scratch_load_dwordx4 a[16:19], off, off offset:1188 ; 16-byte Folded Reload
	scratch_load_dwordx4 a[20:23], off, off offset:1204 ; 16-byte Folded Reload
	scratch_load_dwordx4 a[24:27], off, off offset:1220 ; 16-byte Folded Reload
	scratch_load_dwordx4 a[28:31], off, off offset:1236 ; 16-byte Folded Reload
	v_cndmask_b32_e64 v5, v5, v53, s[30:31]
	s_waitcnt vmcnt(4)
	v_accvgpr_read_b32 v47, a15
	scratch_load_dwordx4 a[0:3], off, off offset:868 ; 16-byte Folded Reload
	scratch_load_dwordx4 a[4:7], off, off offset:884 ; 16-byte Folded Reload
	scratch_load_dwordx4 a[8:11], off, off offset:900 ; 16-byte Folded Reload
	scratch_load_dwordx4 a[12:15], off, off offset:916 ; 16-byte Folded Reload
	scratch_load_dwordx4 a[16:19], off, off offset:932 ; 16-byte Folded Reload
	scratch_load_dwordx4 a[20:23], off, off offset:948 ; 16-byte Folded Reload
	scratch_load_dwordx4 a[24:27], off, off offset:964 ; 16-byte Folded Reload
	scratch_load_dwordx4 a[28:31], off, off offset:980 ; 16-byte Folded Reload
	v_cndmask_b32_e64 v5, v5, v47, s[36:37]
	s_waitcnt vmcnt(5)
	v_accvgpr_read_b32 v14, a10
	scratch_load_dwordx4 a[0:3], off, off offset:740 ; 16-byte Folded Reload
	scratch_load_dwordx4 a[4:7], off, off offset:756 ; 16-byte Folded Reload
	scratch_load_dwordx4 a[8:11], off, off offset:772 ; 16-byte Folded Reload
	scratch_load_dwordx4 a[12:15], off, off offset:788 ; 16-byte Folded Reload
	scratch_load_dwordx4 a[16:19], off, off offset:804 ; 16-byte Folded Reload
	scratch_load_dwordx4 a[20:23], off, off offset:820 ; 16-byte Folded Reload
	scratch_load_dwordx4 a[24:27], off, off offset:836 ; 16-byte Folded Reload
	scratch_load_dwordx4 a[28:31], off, off offset:852 ; 16-byte Folded Reload
	v_cndmask_b32_e64 v13, v13, v14, s[28:29]
	v_cndmask_b32_e64 v13, v13, v32, s[30:31]
	v_cndmask_b32_e64 v13, v13, v212, s[36:37]
	;; [unrolled: 1-line block ×16, first 2 shown]
	s_waitcnt vmcnt(3)
	v_accvgpr_read_b32 v29, a17
	v_cndmask_b32_e64 v25, v5, v29, s[38:39]
	v_cndmask_b32_e64 v5, v179, v117, s[4:5]
	;; [unrolled: 1-line block ×9, first 2 shown]
	v_mul_f64 v[44:45], v[26:27], v[38:39]
	v_fmac_f64_e32 v[44:45], v[24:25], v[34:35]
	v_cndmask_b32_e64 v25, v212, v44, s[42:43]
	scratch_load_dwordx4 v[198:201], off, off offset:484 ; 16-byte Folded Reload
	scratch_load_dwordx4 v[202:205], off, off offset:500 ; 16-byte Folded Reload
	;; [unrolled: 1-line block ×8, first 2 shown]
	v_cndmask_b32_e64 v5, v185, v255, s[20:21]
	v_cndmask_b32_e64 v5, v5, v181, s[22:23]
	;; [unrolled: 1-line block ×12, first 2 shown]
	v_cmp_eq_u32_e64 s[20:21], 1, v37
	v_cmp_eq_u32_e64 s[22:23], 0, v37
	;; [unrolled: 1-line block ×3, first 2 shown]
	v_cndmask_b32_e64 v100, v175, v7, s[20:21]
	v_cndmask_b32_e64 v101, v189, v7, s[22:23]
	;; [unrolled: 1-line block ×9, first 2 shown]
	v_cndmask_b32_e32 v53, v94, v44, vcc
	v_cndmask_b32_e32 v54, v95, v45, vcc
	v_cndmask_b32_e64 v77, v110, v42, s[20:21]
	v_cndmask_b32_e64 v78, v112, v42, s[22:23]
	;; [unrolled: 1-line block ×7, first 2 shown]
	s_waitcnt vmcnt(4)
	v_mov_b32_e32 v62, v210
	scratch_load_dwordx4 v[198:201], off, off offset:356 ; 16-byte Folded Reload
	scratch_load_dwordx4 v[202:205], off, off offset:372 ; 16-byte Folded Reload
	;; [unrolled: 1-line block ×8, first 2 shown]
	v_cndmask_b32_e64 v13, v13, v62, s[30:31]
	v_cndmask_b32_e64 v13, v13, v60, s[36:37]
	v_cmp_eq_u32_e64 s[30:31], 2, v11
	v_cmp_eq_u32_e64 s[36:37], 4, v11
	s_waitcnt vmcnt(3)
	v_mov_b32_e32 v59, v215
	scratch_load_dwordx4 v[198:201], off, off offset:612 ; 16-byte Folded Reload
	scratch_load_dwordx4 v[202:205], off, off offset:628 ; 16-byte Folded Reload
	;; [unrolled: 1-line block ×8, first 2 shown]
	v_cndmask_b32_e64 v47, v5, v59, s[38:39]
	v_cndmask_b32_e64 v5, v185, v255, s[4:5]
	;; [unrolled: 1-line block ×9, first 2 shown]
	v_lshlrev_b32_e32 v5, 2, v37
	v_add3_u32 v5, v8, v5, 40
	s_waitcnt vmcnt(3)
	v_mov_b32_e32 v58, v214
	v_cndmask_b32_e64 v46, v13, v58, s[38:39]
	v_cndmask_b32_e64 v13, v184, v254, s[4:5]
	;; [unrolled: 1-line block ×9, first 2 shown]
	scratch_load_dword v13, v5, off
	v_mul_f64 v[48:49], v[48:49], v[38:39]
	v_cmp_eq_u32_e64 s[4:5], 2, v37
	v_fmac_f64_e32 v[48:49], v[46:47], v[34:35]
	v_cndmask_b32_e64 v57, v62, v48, s[44:45]
	v_cndmask_b32_e64 v99, v183, v7, s[4:5]
	;; [unrolled: 1-line block ×5, first 2 shown]
	v_cmp_eq_u32_e64 s[34:35], 3, v11
	v_cmp_eq_u32_e64 s[38:39], 5, v11
	v_cndmask_b32_e64 v46, v58, v48, s[40:41]
	v_cndmask_b32_e64 v59, v59, v49, s[40:41]
	v_cmp_eq_u32_e64 s[40:41], 6, v11
	v_cndmask_b32_e64 v47, v60, v48, s[42:43]
	v_cndmask_b32_e64 v60, v61, v49, s[42:43]
	v_cmp_eq_u32_e64 s[42:43], 7, v11
	v_cndmask_b32_e64 v61, v63, v49, s[44:45]
	v_cndmask_b32_e32 v64, v85, v49, vcc
	v_cndmask_b32_e64 v76, v108, v42, s[4:5]
	v_cndmask_b32_e64 v79, v109, v43, s[4:5]
	;; [unrolled: 1-line block ×7, first 2 shown]
	v_cmp_eq_u32_e64 s[4:5], 1, v4
	v_cmp_eq_u32_e64 s[44:45], 8, v11
	;; [unrolled: 1-line block ×9, first 2 shown]
	v_cndmask_b32_e64 v4, v97, v96, s[4:5]
	v_cndmask_b32_e64 v4, v4, v93, s[6:7]
	;; [unrolled: 1-line block ×8, first 2 shown]
	v_cndmask_b32_e32 v63, v84, v48, vcc
	v_cndmask_b32_e64 v58, v152, v48, s[46:47]
	v_cndmask_b32_e64 v84, v178, v44, s[22:23]
	;; [unrolled: 1-line block ×6, first 2 shown]
	s_waitcnt vmcnt(0)
	v_lshlrev_b32_e32 v5, 2, v13
	v_add3_u32 v5, v8, v5, 40
	scratch_load_dword v40, v5, off
	v_cndmask_b32_e64 v8, v101, v100, s[26:27]
	v_cndmask_b32_e64 v8, v8, v99, s[30:31]
	;; [unrolled: 1-line block ×24, first 2 shown]
	v_add_f64 v[6:7], -v[4:5], 0
	v_add_f64 v[32:33], v[8:9], -v[4:5]
	v_div_scale_f64 v[34:35], s[24:25], v[32:33], v[32:33], v[6:7]
	v_rcp_f64_e32 v[38:39], v[34:35]
	v_cmp_eq_u32_e64 s[20:21], 3, v13
	v_cmp_eq_u32_e64 s[22:23], 2, v13
	;; [unrolled: 1-line block ×4, first 2 shown]
	s_waitcnt vmcnt(0)
	scratch_store_dword off, v40, off offset:84
	v_fma_f64 v[40:41], -v[34:35], v[38:39], 1.0
	v_fmac_f64_e32 v[38:39], v[38:39], v[40:41]
	v_fma_f64 v[40:41], -v[34:35], v[38:39], 1.0
	v_fmac_f64_e32 v[38:39], v[38:39], v[40:41]
	v_div_scale_f64 v[40:41], vcc, v[6:7], v[32:33], v[6:7]
	v_mul_f64 v[42:43], v[40:41], v[38:39]
	v_fma_f64 v[34:35], -v[34:35], v[42:43], v[40:41]
	s_nop 1
	v_div_fmas_f64 v[34:35], v[34:35], v[38:39], v[42:43]
	v_div_fixup_f64 v[32:33], v[34:35], v[32:33], v[6:7]
	v_cndmask_b32_e64 v6, v81, v80, s[26:27]
	v_cndmask_b32_e64 v6, v6, v79, s[30:31]
	;; [unrolled: 1-line block ×32, first 2 shown]
	v_add_f64 v[38:39], -v[32:33], 1.0
	v_mul_f64 v[6:7], v[6:7], v[38:39]
	v_fmac_f64_e32 v[6:7], v[34:35], v[32:33]
	v_cmp_eq_u32_e32 vcc, 4, v13
	v_cndmask_b32_e64 v109, v79, v7, s[22:23]
	v_cndmask_b32_e64 v108, v76, v6, s[22:23]
	v_cndmask_b32_e32 v35, v50, v7, vcc
	v_cndmask_b32_e32 v34, v31, v6, vcc
	scratch_store_dwordx4 off, v[26:29], off offset:228 ; 16-byte Folded Spill
	s_nop 0
	scratch_store_dwordx4 off, v[30:33], off offset:244 ; 16-byte Folded Spill
	scratch_store_dwordx4 off, v[34:37], off offset:260 ; 16-byte Folded Spill
	;; [unrolled: 1-line block ×7, first 2 shown]
	v_cndmask_b32_e64 v111, v80, v7, s[24:25]
	v_cndmask_b32_e64 v110, v77, v6, s[24:25]
	;; [unrolled: 1-line block ×6, first 2 shown]
	scratch_store_dwordx4 off, v[28:31], off offset:100 ; 16-byte Folded Spill
	s_nop 0
	scratch_store_dwordx4 off, v[32:35], off offset:116 ; 16-byte Folded Spill
	scratch_store_dwordx4 off, v[36:39], off offset:132 ; 16-byte Folded Spill
	;; [unrolled: 1-line block ×7, first 2 shown]
	v_cndmask_b32_e64 v31, v87, v86, s[26:27]
	v_cndmask_b32_e64 v31, v31, v85, s[30:31]
	;; [unrolled: 1-line block ×38, first 2 shown]
	v_mul_f64 v[42:43], v[40:41], v[38:39]
	v_cndmask_b32_e64 v31, v31, v60, s[42:43]
	v_fmac_f64_e32 v[42:43], v[34:35], v[32:33]
	v_cndmask_b32_e64 v35, v31, v59, s[44:45]
	v_cndmask_b32_e64 v31, v90, v89, s[26:27]
	;; [unrolled: 1-line block ×25, first 2 shown]
	v_mul_f64 v[44:45], v[40:41], v[38:39]
	v_fmac_f64_e32 v[44:45], v[34:35], v[32:33]
	v_mul_f64 v[34:35], v[4:5], v[38:39]
	v_cmp_eq_u32_e64 s[8:9], 8, v13
	v_fmac_f64_e32 v[34:35], v[8:9], v[32:33]
	v_cndmask_b32_e32 v95, v54, v43, vcc
	v_cndmask_b32_e64 v31, v22, v7, s[8:9]
	v_cndmask_b32_e32 v94, v53, v42, vcc
	v_cndmask_b32_e64 v49, v56, v43, s[20:21]
	v_cndmask_b32_e64 v48, v55, v42, s[20:21]
	v_cndmask_b32_e64 v115, v85, v43, s[22:23]
	v_cndmask_b32_e64 v114, v82, v42, s[22:23]
	v_cndmask_b32_e64 v117, v86, v43, s[24:25]
	v_cndmask_b32_e64 v116, v83, v42, s[24:25]
	v_cndmask_b32_e64 v179, v87, v43, s[28:29]
	v_cndmask_b32_e64 v178, v84, v42, s[28:29]
	v_cndmask_b32_e32 v85, v64, v45, vcc
	v_cndmask_b32_e32 v84, v63, v44, vcc
	v_cndmask_b32_e64 v127, v66, v45, s[20:21]
	v_cndmask_b32_e64 v126, v65, v44, s[20:21]
	;; [unrolled: 1-line block ×8, first 2 shown]
	v_cndmask_b32_e32 v119, v98, v35, vcc
	v_cndmask_b32_e32 v118, v92, v34, vcc
	v_cndmask_b32_e64 v197, v75, v35, s[20:21]
	v_cndmask_b32_e64 v196, v74, v34, s[20:21]
	;; [unrolled: 1-line block ×8, first 2 shown]
	v_mov_b32_e32 v5, v37
	scratch_store_dwordx4 off, v[14:17], off offset:1892 ; 16-byte Folded Spill
	s_nop 0
	scratch_store_dwordx4 off, v[18:21], off offset:1908 ; 16-byte Folded Spill
	scratch_store_dwordx4 off, v[22:25], off offset:1924 ; 16-byte Folded Spill
	scratch_store_dwordx4 off, v[26:29], off offset:1940 ; 16-byte Folded Spill
	scratch_store_dwordx4 off, v[30:33], off offset:1956 ; 16-byte Folded Spill
	scratch_store_dwordx4 off, v[34:37], off offset:1972 ; 16-byte Folded Spill
	scratch_store_dwordx4 off, v[38:41], off offset:1988 ; 16-byte Folded Spill
	scratch_store_dwordx4 off, v[42:45], off offset:2004 ; 16-byte Folded Spill
	v_cmp_eq_u32_e32 vcc, 7, v13
	v_cmp_eq_u32_e64 s[4:5], 6, v13
	v_cmp_eq_u32_e64 s[6:7], 5, v13
	v_cndmask_b32_e64 v22, v15, v6, s[8:9]
	scratch_store_dwordx4 off, v[6:9], off offset:2148 ; 16-byte Folded Spill
	s_nop 0
	scratch_store_dwordx4 off, v[10:13], off offset:2164 ; 16-byte Folded Spill
	scratch_store_dwordx4 off, v[14:17], off offset:2180 ; 16-byte Folded Spill
	scratch_store_dwordx4 off, v[18:21], off offset:2196 ; 16-byte Folded Spill
	scratch_store_dwordx4 off, v[22:25], off offset:2212 ; 16-byte Folded Spill
	scratch_store_dwordx4 off, v[26:29], off offset:2228 ; 16-byte Folded Spill
	scratch_store_dwordx4 off, v[30:33], off offset:2244 ; 16-byte Folded Spill
	scratch_store_dwordx4 off, v[34:37], off offset:2260 ; 16-byte Folded Spill
	v_cndmask_b32_e64 v152, v58, v44, s[6:7]
	v_cndmask_b32_e32 v15, v21, v7, vcc
	scratch_store_dwordx4 off, v[0:3], off offset:2020 ; 16-byte Folded Spill
	s_nop 0
	scratch_store_dwordx4 off, v[4:7], off offset:2036 ; 16-byte Folded Spill
	scratch_store_dwordx4 off, v[8:11], off offset:2052 ; 16-byte Folded Spill
	;; [unrolled: 1-line block ×7, first 2 shown]
	v_cndmask_b32_e32 v16, v16, v6, vcc
	scratch_store_dwordx4 off, v[2:5], off offset:1508 ; 16-byte Folded Spill
	s_nop 0
	scratch_store_dwordx4 off, v[6:9], off offset:1524 ; 16-byte Folded Spill
	scratch_store_dwordx4 off, v[10:13], off offset:1540 ; 16-byte Folded Spill
	;; [unrolled: 1-line block ×7, first 2 shown]
	scratch_load_dword v40, off, off offset:96 ; 4-byte Folded Reload
	v_cndmask_b32_e64 v15, v20, v7, s[4:5]
	scratch_store_dwordx4 off, v[2:5], off offset:1380 ; 16-byte Folded Spill
	s_nop 0
	scratch_store_dwordx4 off, v[6:9], off offset:1396 ; 16-byte Folded Spill
	scratch_store_dwordx4 off, v[10:13], off offset:1412 ; 16-byte Folded Spill
	;; [unrolled: 1-line block ×7, first 2 shown]
	v_cndmask_b32_e64 v16, v17, v6, s[4:5]
	scratch_store_dwordx4 off, v[4:7], off offset:1636 ; 16-byte Folded Spill
	s_nop 0
	scratch_store_dwordx4 off, v[8:11], off offset:1652 ; 16-byte Folded Spill
	scratch_store_dwordx4 off, v[12:15], off offset:1668 ; 16-byte Folded Spill
	;; [unrolled: 1-line block ×7, first 2 shown]
	v_cndmask_b32_e64 v15, v19, v7, s[6:7]
	v_cndmask_b32_e64 v16, v18, v6, s[6:7]
	v_accvgpr_write_b32 a181, v15
	scratch_store_dwordx4 off, v[6:9], off offset:1764 ; 16-byte Folded Spill
	s_nop 0
	scratch_store_dwordx4 off, v[10:13], off offset:1780 ; 16-byte Folded Spill
	scratch_store_dwordx4 off, v[14:17], off offset:1796 ; 16-byte Folded Spill
	;; [unrolled: 1-line block ×7, first 2 shown]
	v_cndmask_b32_e64 v17, v30, v43, s[8:9]
	scratch_store_dwordx4 off, v[0:3], off offset:740 ; 16-byte Folded Spill
	s_nop 0
	scratch_store_dwordx4 off, v[4:7], off offset:756 ; 16-byte Folded Spill
	scratch_store_dwordx4 off, v[8:11], off offset:772 ; 16-byte Folded Spill
	;; [unrolled: 1-line block ×7, first 2 shown]
	v_cndmask_b32_e64 v18, v26, v42, s[8:9]
	v_cndmask_b32_e32 v15, v29, v43, vcc
	v_accvgpr_write_b32 a34, v18
	scratch_store_dwordx4 off, v[0:3], off offset:1124 ; 16-byte Folded Spill
	s_nop 0
	scratch_store_dwordx4 off, v[4:7], off offset:1140 ; 16-byte Folded Spill
	scratch_store_dwordx4 off, v[8:11], off offset:1156 ; 16-byte Folded Spill
	;; [unrolled: 1-line block ×7, first 2 shown]
	v_cndmask_b32_e64 v15, v28, v43, s[4:5]
	v_cndmask_b32_e32 v212, v25, v42, vcc
	scratch_store_dwordx4 off, v[2:5], off offset:996 ; 16-byte Folded Spill
	s_nop 0
	scratch_store_dwordx4 off, v[6:9], off offset:1012 ; 16-byte Folded Spill
	scratch_store_dwordx4 off, v[10:13], off offset:1028 ; 16-byte Folded Spill
	;; [unrolled: 1-line block ×7, first 2 shown]
	v_cndmask_b32_e64 v15, v27, v43, s[6:7]
	s_nop 0
	v_cndmask_b32_e64 v32, v24, v42, s[4:5]
	scratch_store_dwordx4 off, v[4:7], off offset:1252 ; 16-byte Folded Spill
	s_nop 0
	scratch_store_dwordx4 off, v[8:11], off offset:1268 ; 16-byte Folded Spill
	scratch_store_dwordx4 off, v[12:15], off offset:1284 ; 16-byte Folded Spill
	scratch_store_dwordx4 off, v[16:19], off offset:1300 ; 16-byte Folded Spill
	scratch_store_dwordx4 off, v[20:23], off offset:1316 ; 16-byte Folded Spill
	scratch_store_dwordx4 off, v[24:27], off offset:1332 ; 16-byte Folded Spill
	scratch_store_dwordx4 off, v[28:31], off offset:1348 ; 16-byte Folded Spill
	scratch_store_dwordx4 off, v[32:35], off offset:1364 ; 16-byte Folded Spill
	v_cndmask_b32_e64 v16, v23, v42, s[6:7]
	scratch_store_dwordx4 off, v[6:9], off offset:868 ; 16-byte Folded Spill
	s_nop 0
	scratch_store_dwordx4 off, v[10:13], off offset:884 ; 16-byte Folded Spill
	scratch_store_dwordx4 off, v[14:17], off offset:900 ; 16-byte Folded Spill
	scratch_store_dwordx4 off, v[18:21], off offset:916 ; 16-byte Folded Spill
	scratch_store_dwordx4 off, v[22:25], off offset:932 ; 16-byte Folded Spill
	scratch_store_dwordx4 off, v[26:29], off offset:948 ; 16-byte Folded Spill
	scratch_store_dwordx4 off, v[30:33], off offset:964 ; 16-byte Folded Spill
	scratch_store_dwordx4 off, v[34:37], off offset:980 ; 16-byte Folded Spill
	;; [unrolled: 10-line block ×4, first 2 shown]
	v_cndmask_b32_e32 v15, v60, v45, vcc
	v_accvgpr_write_b32 a97, v15
	v_cndmask_b32_e32 v18, v47, v44, vcc
	v_cndmask_b32_e64 v15, v61, v45, s[4:5]
	v_cndmask_b32_e64 v16, v57, v44, s[4:5]
	v_accvgpr_write_b32 a64, v18
	v_accvgpr_write_b32 a111, v15
	scratch_store_dwordx4 off, v[4:7], off offset:484 ; 16-byte Folded Spill
	s_nop 0
	scratch_store_dwordx4 off, v[8:11], off offset:500 ; 16-byte Folded Spill
	scratch_store_dwordx4 off, v[12:15], off offset:516 ; 16-byte Folded Spill
	;; [unrolled: 1-line block ×7, first 2 shown]
	v_cndmask_b32_e64 v15, v62, v45, s[6:7]
	v_accvgpr_write_b32 a123, v15
	v_cndmask_b32_e32 v14, v14, v34, vcc
	v_cndmask_b32_e64 v15, v72, v35, s[4:5]
	v_cndmask_b32_e64 v17, v70, v35, s[8:9]
	;; [unrolled: 1-line block ×3, first 2 shown]
	v_accvgpr_write_b32 a222, v14
	v_accvgpr_write_b32 a157, v15
	v_cndmask_b32_e64 v14, v68, v34, s[4:5]
	v_cndmask_b32_e64 v15, v73, v35, s[6:7]
	v_accvgpr_write_b32 a17, v17
	v_accvgpr_write_b32 a206, v16
	v_cndmask_b32_e32 v41, v71, v35, vcc
	v_accvgpr_write_b32 a236, v14
	v_accvgpr_write_b32 a169, v15
	v_cndmask_b32_e64 v232, v69, v34, s[6:7]
.LBB2_78:
	s_or_b64 exec, exec, s[52:53]
	s_mov_b64 s[4:5], 0
	scratch_store_dword off, v12, off offset:80
	s_and_saveexec_b64 s[18:19], s[0:1]
	s_cbranch_execz .LBB2_88
; %bb.79:
	s_mov_b64 s[20:21], 0
	v_cmp_gt_f64_e32 vcc, 0, v[2:3]
	v_mov_b32_e32 v2, v36
	s_branch .LBB2_81
.LBB2_80:                               ;   in Loop: Header=BB2_81 Depth=1
	s_or_b64 exec, exec, s[4:5]
	s_waitcnt vmcnt(0)
	v_cmp_gt_i32_e64 s[4:5], 0, v3
	s_or_b64 s[20:21], s[4:5], s[20:21]
	v_mov_b32_e32 v2, v3
	s_andn2_b64 exec, exec, s[20:21]
	s_cbranch_execz .LBB2_87
.LBB2_81:                               ; =>This Inner Loop Header: Depth=1
	v_cmp_eq_u32_e64 s[4:5], 1, v2
	v_cmp_eq_u32_e64 s[6:7], 2, v2
	v_cmp_eq_u32_e64 s[8:9], 3, v2
	v_cndmask_b32_e64 v3, v189, v175, s[4:5]
	v_cndmask_b32_e64 v4, v188, v174, s[4:5]
	;; [unrolled: 1-line block ×5, first 2 shown]
	v_cmp_eq_u32_e64 s[10:11], 4, v2
	v_cndmask_b32_e64 v4, v4, v196, s[8:9]
	v_cmp_eq_u32_e64 s[12:13], 5, v2
	v_cndmask_b32_e64 v3, v3, v119, s[10:11]
	v_accvgpr_read_b32 v15, a169
	v_cndmask_b32_e64 v4, v4, v118, s[10:11]
	v_cndmask_b32_e64 v3, v3, v15, s[12:13]
	v_cmp_eq_u32_e64 s[14:15], 6, v2
	v_accvgpr_read_b32 v15, a157
	v_cndmask_b32_e64 v4, v4, v232, s[12:13]
	v_accvgpr_read_b32 v12, a236
	v_cndmask_b32_e64 v3, v3, v15, s[14:15]
	v_cmp_eq_u32_e64 s[16:17], 7, v2
	v_cndmask_b32_e64 v4, v4, v12, s[14:15]
	v_accvgpr_read_b32 v14, a222
	v_cndmask_b32_e64 v3, v3, v41, s[16:17]
	v_cndmask_b32_e64 v4, v4, v14, s[16:17]
	v_cmp_eq_u32_e64 s[4:5], 8, v2
	v_accvgpr_read_b32 v17, a17
	v_accvgpr_read_b32 v16, a206
	v_cndmask_b32_e64 v7, v3, v17, s[4:5]
	v_cndmask_b32_e64 v6, v4, v16, s[4:5]
	v_cmp_ngt_f64_e64 s[4:5], 0, v[6:7]
	s_waitcnt vmcnt(62)
	v_lshl_add_u32 v6, v2, 2, v40
	scratch_load_dword v3, v6, off
	s_mov_b64 s[6:7], 0
                                        ; implicit-def: $vgpr4
	s_and_saveexec_b64 s[8:9], s[4:5]
	s_xor_b64 s[8:9], exec, s[8:9]
	s_cbranch_execnz .LBB2_84
; %bb.82:                               ;   in Loop: Header=BB2_81 Depth=1
	s_andn2_saveexec_b64 s[4:5], s[8:9]
	s_cbranch_execnz .LBB2_85
.LBB2_83:                               ;   in Loop: Header=BB2_81 Depth=1
	s_or_b64 exec, exec, s[4:5]
	s_and_saveexec_b64 s[4:5], s[6:7]
	s_cbranch_execz .LBB2_80
	s_branch .LBB2_86
.LBB2_84:                               ;   in Loop: Header=BB2_81 Depth=1
	scratch_load_dword v4, off, off offset:80
                                        ; implicit-def: $vgpr6
	s_waitcnt vmcnt(0)
	v_cmp_eq_u32_e64 s[4:5], -1, v4
	v_mov_b32_e32 v4, 0x50
	s_and_b64 s[6:7], s[4:5], exec
	s_andn2_saveexec_b64 s[4:5], s[8:9]
	s_cbranch_execz .LBB2_83
.LBB2_85:                               ;   in Loop: Header=BB2_81 Depth=1
	scratch_load_dword v7, off, off offset:84
	v_mov_b32_e32 v4, 0x54
	s_or_b64 s[6:7], s[6:7], exec
	s_waitcnt vmcnt(0)
	scratch_store_dword v6, v7, off
	s_or_b64 exec, exec, s[4:5]
	s_and_saveexec_b64 s[4:5], s[6:7]
	s_cbranch_execz .LBB2_80
.LBB2_86:                               ;   in Loop: Header=BB2_81 Depth=1
	scratch_store_dword v4, v2, off
	s_branch .LBB2_80
.LBB2_87:
	s_or_b64 exec, exec, s[20:21]
	s_and_b64 s[4:5], vcc, exec
.LBB2_88:
	s_or_b64 exec, exec, s[18:19]
	s_and_saveexec_b64 s[6:7], s[2:3]
	s_cbranch_execz .LBB2_90
; %bb.89:
	v_lshlrev_b32_e32 v2, 2, v13
	v_mov_b32_e32 v3, 0
	v_cmp_gt_f64_e32 vcc, 0, v[0:1]
	v_lshlrev_b32_e32 v1, 2, v5
	v_lshlrev_b32_e32 v4, 2, v10
	v_add3_u32 v2, v3, v2, 40
	s_or_b64 s[2:3], vcc, s[4:5]
	v_add3_u32 v1, v3, v1, 40
	v_add3_u32 v3, v3, v4, 40
	v_cndmask_b32_e64 v0, v11, -1, s[2:3]
	scratch_store_dword v3, v5, off
	scratch_store_dword v1, v13, off
	;; [unrolled: 1-line block ×3, first 2 shown]
.LBB2_90:
	s_or_b64 exec, exec, s[6:7]
	scratch_load_dword v10, off, off offset:80
	v_mov_b64_e32 v[8:9], 0
	v_mov_b64_e32 v[6:7], v[8:9]
	;; [unrolled: 1-line block ×5, first 2 shown]
	s_waitcnt vmcnt(0)
	v_cmp_lt_i32_e32 vcc, -1, v10
	s_and_saveexec_b64 s[16:17], vcc
	s_cbranch_execz .LBB2_96
; %bb.91:
	v_lshlrev_b32_e32 v0, 2, v10
	v_mov_b32_e32 v1, 0
	v_add3_u32 v0, v1, v0, 40
	scratch_load_dword v18, v0, off
	v_mov_b64_e32 v[4:5], 0
	v_mov_b64_e32 v[2:3], v[4:5]
	;; [unrolled: 1-line block ×3, first 2 shown]
	s_waitcnt vmcnt(0)
	v_lshlrev_b32_e32 v0, 2, v18
	v_add3_u32 v0, v1, v0, 40
	scratch_load_dword v15, v0, off
	v_mov_b64_e32 v[0:1], v[4:5]
	s_waitcnt vmcnt(0)
	v_cmp_lt_i32_e32 vcc, -1, v15
	s_and_saveexec_b64 s[18:19], vcc
	s_cbranch_execz .LBB2_95
; %bb.92:
	scratch_load_dwordx4 v[52:55], off, off offset:100 ; 16-byte Folded Reload
	scratch_load_dwordx4 v[56:59], off, off offset:116 ; 16-byte Folded Reload
	;; [unrolled: 1-line block ×16, first 2 shown]
	v_cmp_eq_u32_e32 vcc, 1, v10
	v_cmp_eq_u32_e64 s[2:3], 2, v10
	v_cmp_eq_u32_e64 s[4:5], 3, v10
	v_cndmask_b32_e32 v0, v113, v111, vcc
	v_cndmask_b32_e32 v1, v112, v110, vcc
	v_cndmask_b32_e64 v0, v0, v109, s[2:3]
	v_cndmask_b32_e64 v1, v1, v108, s[2:3]
	v_cmp_eq_u32_e64 s[6:7], 4, v10
	v_cmp_eq_u32_e64 s[8:9], 5, v10
	s_waitcnt vmcnt(8)
	v_accvgpr_read_b32 v81, a181
	v_cmp_eq_u32_e64 s[10:11], 6, v10
	v_cmp_eq_u32_e64 s[12:13], 7, v10
	;; [unrolled: 1-line block ×3, first 2 shown]
	v_mov_b32_e32 v14, v32
	v_accvgpr_read_b32 v68, a34
	v_accvgpr_read_b32 v67, a123
	;; [unrolled: 1-line block ×5, first 2 shown]
	v_mov_b64_e32 v[6:7], 0
	v_mov_b32_e32 v56, v40
	s_mov_b64 s[20:21], 0
	v_mov_b64_e32 v[2:3], v[6:7]
	v_mov_b64_e32 v[4:5], v[6:7]
	v_cndmask_b32_e64 v0, v0, v59, s[4:5]
	s_waitcnt vmcnt(5)
	v_accvgpr_read_b32 v60, a132
	v_accvgpr_read_b32 v61, a133
	scratch_load_dwordx4 a[124:127], off, off offset:1380 ; 16-byte Folded Reload
	scratch_load_dwordx4 a[128:131], off, off offset:1396 ; 16-byte Folded Reload
	;; [unrolled: 1-line block ×8, first 2 shown]
	v_cndmask_b32_e64 v1, v1, v58, s[4:5]
	v_cndmask_b32_e64 v0, v0, v61, s[6:7]
	;; [unrolled: 1-line block ×4, first 2 shown]
	s_waitcnt vmcnt(4)
	v_accvgpr_read_b32 v79, a137
	scratch_load_dwordx4 a[124:127], off, off offset:2020 ; 16-byte Folded Reload
	scratch_load_dwordx4 a[128:131], off, off offset:2036 ; 16-byte Folded Reload
	scratch_load_dwordx4 a[132:135], off, off offset:2052 ; 16-byte Folded Reload
	scratch_load_dwordx4 a[136:139], off, off offset:2068 ; 16-byte Folded Reload
	scratch_load_dwordx4 a[140:143], off, off offset:2084 ; 16-byte Folded Reload
	scratch_load_dwordx4 a[144:147], off, off offset:2100 ; 16-byte Folded Reload
	scratch_load_dwordx4 a[148:151], off, off offset:2116 ; 16-byte Folded Reload
	scratch_load_dwordx4 a[152:155], off, off offset:2132 ; 16-byte Folded Reload
	v_cndmask_b32_e64 v0, v0, v79, s[10:11]
	s_waitcnt vmcnt(4)
	v_accvgpr_read_b32 v75, a139
	scratch_load_dwordx4 a[124:127], off, off offset:1764 ; 16-byte Folded Reload
	scratch_load_dwordx4 a[128:131], off, off offset:1780 ; 16-byte Folded Reload
	scratch_load_dwordx4 a[132:135], off, off offset:1796 ; 16-byte Folded Reload
	scratch_load_dwordx4 a[136:139], off, off offset:1812 ; 16-byte Folded Reload
	scratch_load_dwordx4 a[140:143], off, off offset:1828 ; 16-byte Folded Reload
	scratch_load_dwordx4 a[144:147], off, off offset:1844 ; 16-byte Folded Reload
	scratch_load_dwordx4 a[148:151], off, off offset:1860 ; 16-byte Folded Reload
	scratch_load_dwordx4 a[152:155], off, off offset:1876 ; 16-byte Folded Reload
	v_cndmask_b32_e64 v0, v0, v75, s[12:13]
	;; [unrolled: 11-line block ×6, first 2 shown]
	v_cndmask_b32_e32 v0, v179, v117, vcc
	v_cndmask_b32_e64 v0, v0, v115, s[2:3]
	v_cndmask_b32_e64 v0, v0, v49, s[4:5]
	v_cndmask_b32_e64 v0, v0, v95, s[6:7]
	s_waitcnt vmcnt(3)
	v_accvgpr_read_b32 v72, a140
	scratch_load_dwordx4 a[124:127], off, off offset:1252 ; 16-byte Folded Reload
	scratch_load_dwordx4 a[128:131], off, off offset:1268 ; 16-byte Folded Reload
	;; [unrolled: 1-line block ×8, first 2 shown]
	v_cndmask_b32_e64 v10, v1, v72, s[14:15]
	v_cndmask_b32_e32 v1, v178, v116, vcc
	v_cndmask_b32_e64 v1, v1, v114, s[2:3]
	v_cndmask_b32_e64 v1, v1, v48, s[4:5]
	;; [unrolled: 1-line block ×3, first 2 shown]
	s_waitcnt vmcnt(5)
	v_accvgpr_read_b32 v77, a135
	scratch_load_dwordx4 a[124:127], off, off offset:996 ; 16-byte Folded Reload
	scratch_load_dwordx4 a[128:131], off, off offset:1012 ; 16-byte Folded Reload
	scratch_load_dwordx4 a[132:135], off, off offset:1028 ; 16-byte Folded Reload
	scratch_load_dwordx4 a[136:139], off, off offset:1044 ; 16-byte Folded Reload
	scratch_load_dwordx4 a[140:143], off, off offset:1060 ; 16-byte Folded Reload
	scratch_load_dwordx4 a[144:147], off, off offset:1076 ; 16-byte Folded Reload
	scratch_load_dwordx4 a[148:151], off, off offset:1092 ; 16-byte Folded Reload
	scratch_load_dwordx4 a[152:155], off, off offset:1108 ; 16-byte Folded Reload
	v_cndmask_b32_e64 v0, v0, v77, s[8:9]
	s_waitcnt vmcnt(4)
	v_accvgpr_read_b32 v73, a137
	scratch_load_dwordx4 a[124:127], off, off offset:1124 ; 16-byte Folded Reload
	scratch_load_dwordx4 a[128:131], off, off offset:1140 ; 16-byte Folded Reload
	scratch_load_dwordx4 a[132:135], off, off offset:1156 ; 16-byte Folded Reload
	scratch_load_dwordx4 a[136:139], off, off offset:1172 ; 16-byte Folded Reload
	scratch_load_dwordx4 a[140:143], off, off offset:1188 ; 16-byte Folded Reload
	scratch_load_dwordx4 a[144:147], off, off offset:1204 ; 16-byte Folded Reload
	scratch_load_dwordx4 a[148:151], off, off offset:1220 ; 16-byte Folded Reload
	scratch_load_dwordx4 a[152:155], off, off offset:1236 ; 16-byte Folded Reload
	v_cndmask_b32_e64 v0, v0, v73, s[10:11]
	;; [unrolled: 11-line block ×4, first 2 shown]
	v_cndmask_b32_e64 v1, v1, v14, s[10:11]
	v_cndmask_b32_e64 v1, v1, v212, s[12:13]
	;; [unrolled: 1-line block ×3, first 2 shown]
	v_cndmask_b32_e32 v1, v184, v254, vcc
	v_cndmask_b32_e64 v1, v1, v180, s[2:3]
	v_cndmask_b32_e64 v1, v1, v126, s[4:5]
	v_cndmask_b32_e64 v1, v1, v84, s[6:7]
	v_cndmask_b32_e64 v1, v1, v152, s[8:9]
	s_waitcnt vmcnt(3)
	v_accvgpr_read_b32 v69, a141
	scratch_load_dwordx4 a[124:127], off, off offset:484 ; 16-byte Folded Reload
	scratch_load_dwordx4 a[128:131], off, off offset:500 ; 16-byte Folded Reload
	;; [unrolled: 1-line block ×8, first 2 shown]
	v_cndmask_b32_e64 v13, v0, v69, s[14:15]
	v_cndmask_b32_e32 v0, v185, v255, vcc
	v_cndmask_b32_e64 v0, v0, v181, s[2:3]
	v_cndmask_b32_e64 v0, v0, v127, s[4:5]
	;; [unrolled: 1-line block ×6, first 2 shown]
	v_cmp_eq_u32_e32 vcc, 1, v18
	v_cmp_eq_u32_e64 s[2:3], 2, v18
	v_cmp_eq_u32_e64 s[4:5], 3, v18
	;; [unrolled: 1-line block ×4, first 2 shown]
	s_waitcnt vmcnt(4)
	v_accvgpr_read_b32 v66, a136
	scratch_load_dwordx4 a[124:127], off, off offset:356 ; 16-byte Folded Reload
	scratch_load_dwordx4 a[128:131], off, off offset:372 ; 16-byte Folded Reload
	scratch_load_dwordx4 a[132:135], off, off offset:388 ; 16-byte Folded Reload
	scratch_load_dwordx4 a[136:139], off, off offset:404 ; 16-byte Folded Reload
	scratch_load_dwordx4 a[140:143], off, off offset:420 ; 16-byte Folded Reload
	scratch_load_dwordx4 a[144:147], off, off offset:436 ; 16-byte Folded Reload
	scratch_load_dwordx4 a[148:151], off, off offset:452 ; 16-byte Folded Reload
	scratch_load_dwordx4 a[152:155], off, off offset:468 ; 16-byte Folded Reload
	v_cndmask_b32_e64 v1, v1, v66, s[10:11]
	v_cndmask_b32_e64 v1, v1, v64, s[12:13]
	v_cmp_eq_u32_e64 s[10:11], 6, v18
	v_cmp_eq_u32_e64 s[12:13], 7, v18
	s_waitcnt vmcnt(3)
	v_accvgpr_read_b32 v57, a141
	scratch_load_dwordx4 a[124:127], off, off offset:612 ; 16-byte Folded Reload
	scratch_load_dwordx4 a[128:131], off, off offset:628 ; 16-byte Folded Reload
	;; [unrolled: 1-line block ×8, first 2 shown]
	v_cndmask_b32_e64 v17, v0, v57, s[14:15]
	v_cndmask_b32_e32 v0, v179, v117, vcc
	v_cndmask_b32_e64 v0, v0, v115, s[2:3]
	v_cndmask_b32_e64 v0, v0, v49, s[4:5]
	;; [unrolled: 1-line block ×6, first 2 shown]
	s_waitcnt vmcnt(3)
	v_accvgpr_read_b32 v62, a140
	v_cndmask_b32_e64 v16, v1, v62, s[14:15]
	v_cndmask_b32_e32 v1, v178, v116, vcc
	v_cndmask_b32_e64 v1, v1, v114, s[2:3]
	v_cndmask_b32_e64 v1, v1, v48, s[4:5]
	;; [unrolled: 1-line block ×5, first 2 shown]
	v_cmp_eq_u32_e64 s[14:15], 8, v18
	v_cndmask_b32_e64 v1, v1, v212, s[12:13]
	v_mul_f64 v[20:21], v[16:17], v[10:11]
	v_cndmask_b32_e64 v19, v0, v69, s[14:15]
	v_cndmask_b32_e64 v18, v1, v68, s[14:15]
	v_cndmask_b32_e32 v0, v113, v111, vcc
	v_cndmask_b32_e32 v1, v112, v110, vcc
	v_cndmask_b32_e64 v0, v0, v109, s[2:3]
	v_cndmask_b32_e64 v1, v1, v108, s[2:3]
	;; [unrolled: 1-line block ×14, first 2 shown]
	v_cndmask_b32_e32 v0, v185, v255, vcc
	v_cndmask_b32_e32 v1, v184, v254, vcc
	v_cndmask_b32_e64 v0, v0, v181, s[2:3]
	v_cndmask_b32_e64 v1, v1, v180, s[2:3]
	;; [unrolled: 1-line block ×14, first 2 shown]
	v_add_f64 v[34:35], v[18:19], -v[12:13]
	v_add_f64 v[30:31], v[26:27], -v[10:11]
	v_mul_f64 v[22:23], v[12:13], v[16:17]
	v_mul_f64 v[24:25], v[16:17], v[16:17]
	v_mov_b64_e32 v[0:1], v[6:7]
.LBB2_93:                               ; =>This Inner Loop Header: Depth=1
	v_cmp_eq_u32_e32 vcc, 1, v15
	v_cmp_eq_u32_e64 s[2:3], 2, v15
	v_cmp_eq_u32_e64 s[4:5], 3, v15
	;; [unrolled: 1-line block ×7, first 2 shown]
	v_lshl_add_u32 v15, v15, 2, v56
	scratch_load_dword v15, v15, off
	v_cndmask_b32_e32 v38, v113, v111, vcc
	v_cndmask_b32_e32 v39, v112, v110, vcc
	v_cndmask_b32_e64 v38, v38, v109, s[2:3]
	v_cndmask_b32_e64 v39, v39, v108, s[2:3]
	;; [unrolled: 1-line block ×14, first 2 shown]
	v_cndmask_b32_e32 v42, v179, v117, vcc
	v_cndmask_b32_e32 v43, v178, v116, vcc
	v_cndmask_b32_e64 v42, v42, v115, s[2:3]
	v_cndmask_b32_e64 v43, v43, v114, s[2:3]
	;; [unrolled: 1-line block ×14, first 2 shown]
	v_add_f64 v[44:45], v[38:39], -v[10:11]
	v_mul_f64 v[34:35], v[44:45], v[34:35]
	v_add_f64 v[46:47], v[42:43], -v[12:13]
	v_fma_f64 v[30:31], v[46:47], v[30:31], -v[34:35]
	v_cndmask_b32_e32 v34, v185, v255, vcc
	v_cndmask_b32_e32 v35, v184, v254, vcc
	v_cndmask_b32_e64 v34, v34, v181, s[2:3]
	v_cndmask_b32_e64 v35, v35, v180, s[2:3]
	v_cndmask_b32_e64 v34, v34, v127, s[4:5]
	v_cndmask_b32_e64 v35, v35, v126, s[4:5]
	v_cndmask_b32_e64 v34, v34, v85, s[6:7]
	v_cndmask_b32_e64 v35, v35, v84, s[6:7]
	v_cndmask_b32_e64 v34, v34, v67, s[8:9]
	v_cndmask_b32_e64 v35, v35, v152, s[8:9]
	v_cndmask_b32_e64 v34, v34, v65, s[10:11]
	v_cndmask_b32_e64 v35, v35, v66, s[10:11]
	v_cndmask_b32_e64 v34, v34, v63, s[12:13]
	v_cndmask_b32_e64 v35, v35, v64, s[12:13]
	v_cndmask_b32_e64 v51, v34, v57, s[14:15]
	v_cndmask_b32_e64 v50, v35, v62, s[14:15]
	v_fma_f64 v[52:53], v[28:29], v[28:29], v[24:25]
	v_fmac_f64_e32 v[52:53], v[50:51], v[50:51]
	v_fmac_f64_e32 v[52:53], v[16:17], v[28:29]
	;; [unrolled: 1-line block ×3, first 2 shown]
	v_add_f64 v[54:55], v[16:17], v[28:29]
	v_add_f64 v[34:35], v[10:11], v[26:27]
	v_fma_f64 v[26:27], v[26:27], v[28:29], v[20:21]
	v_fmac_f64_e32 v[52:53], v[50:51], v[28:29]
	v_fma_f64 v[28:29], v[18:19], v[28:29], v[22:23]
	v_add_f64 v[18:19], v[12:13], v[18:19]
	v_add_f64 v[54:55], v[50:51], v[54:55]
	;; [unrolled: 1-line block ×4, first 2 shown]
	v_fmac_f64_e32 v[6:7], v[54:55], v[30:31]
	v_mul_f64 v[54:55], v[54:55], v[30:31]
	v_mul_f64 v[34:35], v[34:35], v[54:55]
	;; [unrolled: 1-line block ×3, first 2 shown]
	v_fmac_f64_e32 v[26:27], v[50:51], v[38:39]
	v_fmac_f64_e32 v[28:29], v[42:43], v[50:51]
	;; [unrolled: 1-line block ×5, first 2 shown]
	v_add_f64 v[0:1], v[0:1], v[34:35]
	v_add_f64 v[2:3], v[2:3], v[18:19]
	v_mov_b64_e32 v[26:27], v[38:39]
	v_mov_b64_e32 v[18:19], v[42:43]
	;; [unrolled: 1-line block ×3, first 2 shown]
	s_waitcnt vmcnt(0)
	v_cmp_gt_i32_e32 vcc, 0, v15
	v_mov_b64_e32 v[30:31], v[44:45]
	s_or_b64 s[20:21], vcc, s[20:21]
	v_mov_b64_e32 v[28:29], v[50:51]
	s_andn2_b64 exec, exec, s[20:21]
	s_cbranch_execnz .LBB2_93
; %bb.94:
	s_or_b64 exec, exec, s[20:21]
.LBB2_95:
	s_or_b64 exec, exec, s[18:19]
.LBB2_96:
	s_or_b64 exec, exec, s[16:17]
	s_and_saveexec_b64 s[18:19], s[0:1]
	s_cbranch_execz .LBB2_100
; %bb.97:
	s_mov_b32 s22, 0x4ad4b81f
	s_mov_b64 s[20:21], 0
	s_mov_b32 s23, 0xb58dee7a
	v_mov_b32_e32 v8, 0
	v_mov_b32_e32 v9, v36
	v_accvgpr_read_b32 v17, a17
	v_accvgpr_read_b32 v13, a157
	;; [unrolled: 1-line block ×6, first 2 shown]
.LBB2_98:                               ; =>This Inner Loop Header: Depth=1
	v_cmp_eq_u32_e32 vcc, 1, v9
	v_cmp_eq_u32_e64 s[2:3], 2, v9
	v_cmp_eq_u32_e64 s[4:5], 3, v9
	;; [unrolled: 1-line block ×8, first 2 shown]
	v_lshl_add_u32 v9, v9, 2, v8
	scratch_load_dword v9, v9, off
	v_cndmask_b32_e32 v10, v189, v175, vcc
	v_cndmask_b32_e32 v11, v188, v174, vcc
	v_cndmask_b32_e64 v10, v10, v183, s[2:3]
	v_cndmask_b32_e64 v11, v11, v182, s[2:3]
	;; [unrolled: 1-line block ×14, first 2 shown]
	v_add_f64 v[10:11], -v[10:11], s[22:23]
	v_cndmask_b32_e32 v175, v175, v11, vcc
	v_cndmask_b32_e32 v174, v174, v10, vcc
	v_cndmask_b32_e64 v17, v17, v11, s[14:15]
	v_cndmask_b32_e64 v16, v16, v10, s[14:15]
	v_cndmask_b32_e64 v41, v41, v11, s[12:13]
	v_cndmask_b32_e64 v14, v14, v10, s[12:13]
	v_cndmask_b32_e64 v13, v13, v11, s[10:11]
	v_cndmask_b32_e64 v18, v18, v10, s[10:11]
	v_cndmask_b32_e64 v15, v15, v11, s[8:9]
	v_cndmask_b32_e64 v232, v232, v10, s[8:9]
	v_cndmask_b32_e64 v119, v119, v11, s[6:7]
	v_cndmask_b32_e64 v118, v118, v10, s[6:7]
	v_cndmask_b32_e64 v197, v197, v11, s[4:5]
	v_cndmask_b32_e64 v196, v196, v10, s[4:5]
	v_cndmask_b32_e64 v183, v183, v11, s[2:3]
	v_cndmask_b32_e64 v182, v182, v10, s[2:3]
	v_cndmask_b32_e64 v189, v189, v11, s[16:17]
	v_cndmask_b32_e64 v188, v188, v10, s[16:17]
	s_waitcnt vmcnt(0)
	v_cmp_gt_i32_e32 vcc, 0, v9
	s_or_b64 s[20:21], vcc, s[20:21]
	s_andn2_b64 exec, exec, s[20:21]
	s_cbranch_execnz .LBB2_98
; %bb.99:
	s_or_b64 exec, exec, s[20:21]
	v_cmp_eq_u32_e32 vcc, 1, v36
	v_cmp_eq_u32_e64 s[2:3], 2, v36
	v_cmp_eq_u32_e64 s[4:5], 3, v36
	v_cndmask_b32_e32 v8, v189, v175, vcc
	v_cndmask_b32_e32 v9, v188, v174, vcc
	v_cndmask_b32_e64 v8, v8, v183, s[2:3]
	v_cndmask_b32_e64 v9, v9, v182, s[2:3]
	;; [unrolled: 1-line block ×3, first 2 shown]
	v_cmp_eq_u32_e64 s[6:7], 4, v36
	v_cndmask_b32_e64 v9, v9, v196, s[4:5]
	v_cmp_eq_u32_e64 s[8:9], 5, v36
	v_cndmask_b32_e64 v8, v8, v119, s[6:7]
	v_cndmask_b32_e64 v9, v9, v118, s[6:7]
	;; [unrolled: 1-line block ×3, first 2 shown]
	v_cmp_eq_u32_e64 s[10:11], 6, v36
	v_cndmask_b32_e64 v9, v9, v232, s[8:9]
	v_cmp_eq_u32_e64 s[12:13], 7, v36
	v_cndmask_b32_e64 v8, v8, v13, s[10:11]
	v_cndmask_b32_e64 v9, v9, v18, s[10:11]
	;; [unrolled: 1-line block ×4, first 2 shown]
	v_cmp_eq_u32_e32 vcc, 8, v36
	v_accvgpr_write_b32 a169, v15
	v_accvgpr_write_b32 a157, v13
	;; [unrolled: 1-line block ×5, first 2 shown]
	v_cndmask_b32_e32 v9, v8, v17, vcc
	v_accvgpr_write_b32 a206, v16
	v_cndmask_b32_e32 v8, v10, v16, vcc
.LBB2_100:
	s_or_b64 exec, exec, s[18:19]
	v_mov_b64_e32 v[12:13], -1
	v_mov_b32_e32 v20, -1
	v_mov_b64_e32 v[16:17], v[12:13]
	v_mov_b64_e32 v[10:11], v[8:9]
	v_mov_b32_e32 v21, -1
	s_and_saveexec_b64 s[10:11], s[0:1]
	s_cbranch_execz .LBB2_104
; %bb.101:
	s_mov_b64 s[12:13], 0
	v_mov_b32_e32 v20, -1
	v_mov_b32_e32 v13, 0
	v_mov_b32_e32 v15, v36
	v_mov_b32_e32 v12, -1
	v_mov_b32_e32 v16, -1
	;; [unrolled: 1-line block ×3, first 2 shown]
	v_mov_b64_e32 v[18:19], v[8:9]
	v_accvgpr_read_b32 v25, a17
	v_accvgpr_read_b32 v27, a157
	;; [unrolled: 1-line block ×6, first 2 shown]
.LBB2_102:                              ; =>This Inner Loop Header: Depth=1
	v_lshl_add_u32 v10, v15, 2, v13
	scratch_load_dword v17, v10, off
	s_waitcnt vmcnt(0)
	v_cmp_gt_i32_e32 vcc, 0, v17
	s_nop 1
	v_cndmask_b32_e32 v24, v17, v36, vcc
	v_cmp_eq_u32_e64 s[2:3], 1, v24
	v_cmp_eq_u32_e64 s[4:5], 2, v24
	;; [unrolled: 1-line block ×3, first 2 shown]
	v_cndmask_b32_e64 v10, v189, v175, s[2:3]
	v_cndmask_b32_e64 v11, v188, v174, s[2:3]
	;; [unrolled: 1-line block ×5, first 2 shown]
	v_cmp_eq_u32_e64 s[2:3], 4, v24
	v_cndmask_b32_e64 v11, v11, v196, s[6:7]
	v_cmp_eq_u32_e64 s[4:5], 5, v24
	v_cndmask_b32_e64 v10, v10, v119, s[2:3]
	v_cndmask_b32_e64 v11, v11, v118, s[2:3]
	;; [unrolled: 1-line block ×3, first 2 shown]
	v_cmp_eq_u32_e64 s[2:3], 6, v24
	v_cndmask_b32_e64 v11, v11, v232, s[4:5]
	v_cmp_eq_u32_e64 s[4:5], 7, v24
	v_cndmask_b32_e64 v10, v10, v27, s[2:3]
	v_cndmask_b32_e64 v11, v11, v28, s[2:3]
	;; [unrolled: 1-line block ×4, first 2 shown]
	v_cmp_eq_u32_e64 s[2:3], 8, v24
	s_nop 1
	v_cndmask_b32_e64 v23, v10, v25, s[2:3]
	v_cndmask_b32_e64 v22, v11, v26, s[2:3]
	v_mov_b64_e32 v[10:11], v[18:19]
	v_cmp_le_f64_e64 s[2:3], 0, v[10:11]
	v_cmp_gt_f64_e64 s[4:5], 0, v[10:11]
	v_cmp_gt_f64_e64 s[6:7], 0, v[22:23]
	v_cmp_le_f64_e64 s[8:9], 0, v[22:23]
	s_and_b64 s[2:3], s[2:3], s[6:7]
	s_and_b64 s[4:5], s[4:5], s[8:9]
	v_cndmask_b32_e64 v16, v16, v24, s[2:3]
	v_cndmask_b32_e64 v21, v21, v24, s[4:5]
	;; [unrolled: 1-line block ×4, first 2 shown]
	s_or_b64 s[12:13], vcc, s[12:13]
	v_mov_b32_e32 v15, v17
	v_mov_b64_e32 v[18:19], v[22:23]
	s_andn2_b64 exec, exec, s[12:13]
	s_cbranch_execnz .LBB2_102
; %bb.103:
	s_or_b64 exec, exec, s[12:13]
.LBB2_104:
	s_or_b64 exec, exec, s[10:11]
	v_cmp_lt_i32_e64 s[2:3], -1, v20
	v_mov_b32_e32 v18, -1
	v_mov_b32_e32 v13, -1
	;; [unrolled: 1-line block ×3, first 2 shown]
	s_and_saveexec_b64 s[52:53], s[2:3]
	s_cbranch_execz .LBB2_106
; %bb.105:
	scratch_load_dwordx4 v[50:53], off, off offset:100 ; 16-byte Folded Reload
	scratch_load_dwordx4 v[54:57], off, off offset:116 ; 16-byte Folded Reload
	;; [unrolled: 1-line block ×8, first 2 shown]
	v_cmp_eq_u32_e64 s[4:5], 1, v16
	v_cmp_eq_u32_e64 s[6:7], 2, v16
	;; [unrolled: 1-line block ×3, first 2 shown]
	v_cndmask_b32_e64 v13, v189, v175, s[4:5]
	v_cndmask_b32_e64 v15, v188, v174, s[4:5]
	v_cndmask_b32_e64 v13, v13, v183, s[6:7]
	v_cndmask_b32_e64 v15, v15, v182, s[6:7]
	v_cndmask_b32_e64 v13, v13, v197, s[8:9]
	v_cmp_eq_u32_e64 s[10:11], 4, v16
	v_cndmask_b32_e64 v15, v15, v196, s[8:9]
	v_cmp_eq_u32_e64 s[12:13], 5, v16
	v_cndmask_b32_e64 v13, v13, v119, s[10:11]
	v_accvgpr_read_b32 v91, a169
	v_cndmask_b32_e64 v15, v15, v118, s[10:11]
	v_cndmask_b32_e64 v13, v13, v91, s[12:13]
	v_cmp_eq_u32_e64 s[14:15], 6, v16
	v_accvgpr_read_b32 v89, a157
	v_cndmask_b32_e64 v15, v15, v232, s[12:13]
	v_accvgpr_read_b32 v86, a236
	v_cndmask_b32_e64 v13, v13, v89, s[14:15]
	v_cmp_eq_u32_e64 s[16:17], 7, v16
	v_cndmask_b32_e64 v15, v15, v86, s[14:15]
	v_accvgpr_read_b32 v82, a222
	v_cndmask_b32_e64 v13, v13, v41, s[16:17]
	v_cmp_eq_u32_e64 s[18:19], 8, v16
	v_cndmask_b32_e64 v15, v15, v82, s[16:17]
	v_accvgpr_read_b32 v33, a17
	v_accvgpr_read_b32 v40, a206
	v_cmp_eq_u32_e64 s[20:21], 1, v20
	v_cndmask_b32_e64 v17, v13, v33, s[18:19]
	v_cndmask_b32_e64 v16, v15, v40, s[18:19]
	v_cndmask_b32_e64 v13, v189, v175, s[20:21]
	v_cmp_eq_u32_e64 s[22:23], 2, v20
	v_cndmask_b32_e64 v15, v188, v174, s[20:21]
	v_cmp_eq_u32_e64 s[24:25], 3, v20
	v_cndmask_b32_e64 v13, v13, v183, s[22:23]
	v_cndmask_b32_e64 v15, v15, v182, s[22:23]
	v_cndmask_b32_e64 v13, v13, v197, s[24:25]
	v_cmp_eq_u32_e64 s[26:27], 4, v20
	v_cndmask_b32_e64 v15, v15, v196, s[24:25]
	;; [unrolled: 6-line block ×3, first 2 shown]
	v_cmp_eq_u32_e64 s[34:35], 7, v20
	v_cndmask_b32_e64 v13, v13, v89, s[30:31]
	v_cndmask_b32_e64 v15, v15, v86, s[30:31]
	;; [unrolled: 1-line block ×4, first 2 shown]
	v_cmp_eq_u32_e64 s[38:39], 8, v20
	v_add_f64 v[22:23], -v[16:17], 0
	v_accvgpr_read_b32 v43, a181
	v_cndmask_b32_e64 v45, v13, v33, s[38:39]
	v_cndmask_b32_e64 v44, v15, v40, s[38:39]
	v_add_f64 v[24:25], v[44:45], -v[16:17]
	v_div_scale_f64 v[26:27], s[36:37], v[24:25], v[24:25], v[22:23]
	v_rcp_f64_e32 v[28:29], v[26:27]
	v_cndmask_b32_e64 v13, v113, v111, s[20:21]
	v_cndmask_b32_e64 v15, v112, v110, s[20:21]
	;; [unrolled: 1-line block ×3, first 2 shown]
	v_fma_f64 v[30:31], -v[26:27], v[28:29], 1.0
	v_fmac_f64_e32 v[28:29], v[28:29], v[30:31]
	v_fma_f64 v[30:31], -v[26:27], v[28:29], 1.0
	v_fmac_f64_e32 v[28:29], v[28:29], v[30:31]
	v_div_scale_f64 v[30:31], vcc, v[22:23], v[24:25], v[22:23]
	v_mul_f64 v[34:35], v[30:31], v[28:29]
	v_fma_f64 v[26:27], -v[26:27], v[34:35], v[30:31]
	v_cndmask_b32_e64 v15, v15, v108, s[22:23]
	s_nop 0
	v_div_fmas_f64 v[26:27], v[26:27], v[28:29], v[34:35]
	v_div_fixup_f64 v[46:47], v[26:27], v[24:25], v[22:23]
	v_cmp_eq_u32_e64 s[42:43], 7, v37
	v_cmp_eq_u32_e64 s[44:45], 6, v37
	;; [unrolled: 1-line block ×5, first 2 shown]
	s_waitcnt vmcnt(6)
	v_mov_b64_e32 v[30:31], v[56:57]
	scratch_load_dwordx4 v[50:53], off, off offset:228 ; 16-byte Folded Reload
	scratch_load_dwordx4 v[54:57], off, off offset:244 ; 16-byte Folded Reload
	;; [unrolled: 1-line block ×8, first 2 shown]
	v_cndmask_b32_e64 v13, v13, v31, s[24:25]
	v_cndmask_b32_e64 v15, v15, v30, s[24:25]
	v_cmp_eq_u32_e32 vcc, 4, v37
	s_waitcnt vmcnt(5)
	v_mov_b64_e32 v[34:35], v[58:59]
	scratch_load_dwordx4 v[50:53], off, off offset:1380 ; 16-byte Folded Reload
	scratch_load_dwordx4 v[54:57], off, off offset:1396 ; 16-byte Folded Reload
	;; [unrolled: 1-line block ×8, first 2 shown]
	v_cndmask_b32_e64 v13, v13, v35, s[26:27]
	v_cndmask_b32_e64 v15, v15, v34, s[26:27]
	v_cndmask_b32_e64 v13, v13, v43, s[28:29]
	s_waitcnt vmcnt(4)
	v_mov_b32_e32 v39, v63
	scratch_load_dwordx4 v[50:53], off, off offset:2020 ; 16-byte Folded Reload
	scratch_load_dwordx4 v[54:57], off, off offset:2036 ; 16-byte Folded Reload
	scratch_load_dwordx4 v[58:61], off, off offset:2052 ; 16-byte Folded Reload
	scratch_load_dwordx4 v[62:65], off, off offset:2068 ; 16-byte Folded Reload
	scratch_load_dwordx4 v[66:69], off, off offset:2084 ; 16-byte Folded Reload
	scratch_load_dwordx4 v[70:73], off, off offset:2100 ; 16-byte Folded Reload
	scratch_load_dwordx4 v[74:77], off, off offset:2116 ; 16-byte Folded Reload
	scratch_load_dwordx4 v[78:81], off, off offset:2132 ; 16-byte Folded Reload
	v_cndmask_b32_e64 v13, v13, v39, s[30:31]
	s_waitcnt vmcnt(4)
	v_mov_b32_e32 v27, v65
	scratch_load_dwordx4 v[50:53], off, off offset:1764 ; 16-byte Folded Reload
	scratch_load_dwordx4 v[54:57], off, off offset:1780 ; 16-byte Folded Reload
	scratch_load_dwordx4 v[58:61], off, off offset:1796 ; 16-byte Folded Reload
	scratch_load_dwordx4 v[62:65], off, off offset:1812 ; 16-byte Folded Reload
	scratch_load_dwordx4 v[66:69], off, off offset:1828 ; 16-byte Folded Reload
	scratch_load_dwordx4 v[70:73], off, off offset:1844 ; 16-byte Folded Reload
	scratch_load_dwordx4 v[74:77], off, off offset:1860 ; 16-byte Folded Reload
	scratch_load_dwordx4 v[78:81], off, off offset:1876 ; 16-byte Folded Reload
	v_cndmask_b32_e64 v13, v13, v27, s[34:35]
	;; [unrolled: 11-line block ×5, first 2 shown]
	s_waitcnt vmcnt(3)
	v_mov_b32_e32 v19, v67
	scratch_load_dwordx4 v[50:53], off, off offset:2148 ; 16-byte Folded Reload
	scratch_load_dwordx4 v[54:57], off, off offset:2164 ; 16-byte Folded Reload
	;; [unrolled: 1-line block ×16, first 2 shown]
	v_cndmask_b32_e64 v23, v13, v19, s[38:39]
	v_cndmask_b32_e64 v13, v113, v111, s[4:5]
	;; [unrolled: 1-line block ×9, first 2 shown]
	s_waitcnt vmcnt(15)
	v_add_f64 v[50:51], -v[46:47], 1.0
	v_cndmask_b32_e64 v13, v179, v117, s[20:21]
	v_cndmask_b32_e64 v13, v13, v115, s[22:23]
	;; [unrolled: 1-line block ×4, first 2 shown]
	s_waitcnt vmcnt(9)
	v_accvgpr_read_b32 v77, a123
	v_accvgpr_read_b32 v73, a111
	;; [unrolled: 1-line block ×4, first 2 shown]
	v_mul_f64 v[16:17], v[16:17], v[50:51]
	v_fmac_f64_e32 v[16:17], v[44:45], v[46:47]
	s_waitcnt vmcnt(8)
	v_cndmask_b32_e64 v80, v40, v16, s[40:41]
	v_cndmask_b32_e64 v81, v82, v16, s[42:43]
	;; [unrolled: 1-line block ×4, first 2 shown]
	v_cndmask_b32_e32 v99, v118, v16, vcc
	v_cndmask_b32_e64 v74, v196, v16, s[36:37]
	v_cndmask_b32_e64 v75, v197, v17, s[36:37]
	v_cndmask_b32_e32 v103, v119, v17, vcc
	v_cndmask_b32_e64 v88, v89, v17, s[44:45]
	v_cndmask_b32_e64 v89, v91, v17, s[46:47]
	;; [unrolled: 1-line block ×4, first 2 shown]
	v_mov_b32_e32 v26, v66
	s_waitcnt vmcnt(5)
	v_accvgpr_read_b32 v63, a11
	scratch_load_dwordx4 a[0:3], off, off offset:996 ; 16-byte Folded Reload
	scratch_load_dwordx4 a[4:7], off, off offset:1012 ; 16-byte Folded Reload
	;; [unrolled: 1-line block ×8, first 2 shown]
	v_cndmask_b32_e64 v22, v15, v26, s[38:39]
	v_cndmask_b32_e64 v15, v112, v110, s[4:5]
	;; [unrolled: 1-line block ×9, first 2 shown]
	v_mul_f64 v[52:53], v[24:25], v[50:51]
	v_fmac_f64_e32 v[52:53], v[22:23], v[46:47]
	v_cndmask_b32_e64 v24, v28, v52, s[44:45]
	v_cndmask_b32_e64 v28, v27, v53, s[42:43]
	v_cndmask_b32_e64 v27, v39, v53, s[44:45]
	v_cndmask_b32_e64 v23, v14, v52, s[42:43]
	v_cndmask_b32_e64 v15, v178, v116, s[20:21]
	v_cndmask_b32_e64 v15, v15, v114, s[22:23]
	v_cndmask_b32_e64 v15, v15, v48, s[24:25]
	v_cndmask_b32_e64 v15, v15, v94, s[26:27]
	v_cndmask_b32_e64 v13, v13, v63, s[28:29]
	v_cndmask_b32_e64 v25, v38, v52, s[46:47]
	v_cndmask_b32_e64 v29, v19, v53, s[40:41]
	v_accvgpr_read_b32 v38, a34
	v_cndmask_b32_e64 v60, v30, v52, s[36:37]
	v_cndmask_b32_e64 v61, v31, v53, s[36:37]
	v_cndmask_b32_e32 v58, v34, v52, vcc
	v_cndmask_b32_e32 v59, v35, v53, vcc
	v_cndmask_b32_e64 v22, v26, v52, s[40:41]
	v_cndmask_b32_e64 v26, v43, v53, s[46:47]
	s_waitcnt vmcnt(4)
	v_accvgpr_read_b32 v57, a13
	scratch_load_dwordx4 a[0:3], off, off offset:1124 ; 16-byte Folded Reload
	scratch_load_dwordx4 a[4:7], off, off offset:1140 ; 16-byte Folded Reload
	scratch_load_dwordx4 a[8:11], off, off offset:1156 ; 16-byte Folded Reload
	scratch_load_dwordx4 a[12:15], off, off offset:1172 ; 16-byte Folded Reload
	scratch_load_dwordx4 a[16:19], off, off offset:1188 ; 16-byte Folded Reload
	scratch_load_dwordx4 a[20:23], off, off offset:1204 ; 16-byte Folded Reload
	scratch_load_dwordx4 a[24:27], off, off offset:1220 ; 16-byte Folded Reload
	scratch_load_dwordx4 a[28:31], off, off offset:1236 ; 16-byte Folded Reload
	v_cndmask_b32_e64 v13, v13, v57, s[30:31]
	s_waitcnt vmcnt(4)
	v_accvgpr_read_b32 v39, a15
	scratch_load_dwordx4 a[0:3], off, off offset:868 ; 16-byte Folded Reload
	scratch_load_dwordx4 a[4:7], off, off offset:884 ; 16-byte Folded Reload
	scratch_load_dwordx4 a[8:11], off, off offset:900 ; 16-byte Folded Reload
	scratch_load_dwordx4 a[12:15], off, off offset:916 ; 16-byte Folded Reload
	scratch_load_dwordx4 a[16:19], off, off offset:932 ; 16-byte Folded Reload
	scratch_load_dwordx4 a[20:23], off, off offset:948 ; 16-byte Folded Reload
	scratch_load_dwordx4 a[24:27], off, off offset:964 ; 16-byte Folded Reload
	scratch_load_dwordx4 a[28:31], off, off offset:980 ; 16-byte Folded Reload
	;; [unrolled: 11-line block ×3, first 2 shown]
	v_cndmask_b32_e64 v15, v15, v14, s[28:29]
	v_cndmask_b32_e64 v15, v15, v32, s[30:31]
	;; [unrolled: 1-line block ×17, first 2 shown]
	s_waitcnt vmcnt(3)
	v_accvgpr_read_b32 v19, a17
	v_cndmask_b32_e64 v31, v13, v19, s[38:39]
	v_cndmask_b32_e64 v13, v179, v117, s[4:5]
	;; [unrolled: 1-line block ×9, first 2 shown]
	v_mul_f64 v[54:55], v[34:35], v[50:51]
	v_fmac_f64_e32 v[54:55], v[30:31], v[46:47]
	v_cndmask_b32_e64 v34, v212, v54, s[42:43]
	scratch_load_dwordx4 v[198:201], off, off offset:484 ; 16-byte Folded Reload
	scratch_load_dwordx4 v[202:205], off, off offset:500 ; 16-byte Folded Reload
	;; [unrolled: 1-line block ×8, first 2 shown]
	v_cndmask_b32_e64 v43, v19, v55, s[40:41]
	v_cndmask_b32_e64 v13, v185, v255, s[20:21]
	;; [unrolled: 1-line block ×13, first 2 shown]
	v_cmp_eq_u32_e64 s[20:21], 1, v37
	v_cmp_eq_u32_e64 s[22:23], 0, v37
	;; [unrolled: 1-line block ×3, first 2 shown]
	v_cndmask_b32_e64 v105, v175, v17, s[20:21]
	v_cndmask_b32_e64 v106, v189, v17, s[22:23]
	;; [unrolled: 1-line block ×7, first 2 shown]
	v_cndmask_b32_e32 v62, v94, v54, vcc
	v_cndmask_b32_e32 v63, v95, v55, vcc
	v_cndmask_b32_e64 v91, v116, v54, s[20:21]
	v_cndmask_b32_e64 v93, v117, v55, s[20:21]
	s_waitcnt vmcnt(4)
	v_mov_b32_e32 v70, v210
	scratch_load_dwordx4 v[198:201], off, off offset:356 ; 16-byte Folded Reload
	scratch_load_dwordx4 v[202:205], off, off offset:372 ; 16-byte Folded Reload
	;; [unrolled: 1-line block ×8, first 2 shown]
	v_cndmask_b32_e64 v15, v15, v70, s[30:31]
	v_cndmask_b32_e64 v15, v15, v68, s[34:35]
	v_cmp_eq_u32_e64 s[30:31], 2, v21
	v_cmp_eq_u32_e64 s[34:35], 3, v21
	s_waitcnt vmcnt(3)
	v_mov_b32_e32 v19, v215
	scratch_load_dwordx4 v[198:201], off, off offset:612 ; 16-byte Folded Reload
	scratch_load_dwordx4 v[202:205], off, off offset:628 ; 16-byte Folded Reload
	;; [unrolled: 1-line block ×8, first 2 shown]
	v_cndmask_b32_e64 v49, v13, v19, s[38:39]
	v_cndmask_b32_e64 v13, v185, v255, s[4:5]
	;; [unrolled: 1-line block ×9, first 2 shown]
	v_mov_b32_e32 v13, 0
	v_lshl_add_u32 v14, v37, 2, v13
	s_waitcnt vmcnt(3)
	v_mov_b32_e32 v66, v214
	v_cndmask_b32_e64 v48, v15, v66, s[38:39]
	v_cndmask_b32_e64 v15, v184, v254, s[4:5]
	v_cndmask_b32_e64 v15, v15, v180, s[6:7]
	v_cndmask_b32_e64 v15, v15, v126, s[8:9]
	v_cndmask_b32_e64 v15, v15, v84, s[10:11]
	v_cndmask_b32_e64 v15, v15, v152, s[12:13]
	v_cndmask_b32_e64 v15, v15, v70, s[14:15]
	v_cndmask_b32_e64 v15, v15, v68, s[16:17]
	v_cndmask_b32_e64 v56, v15, v66, s[18:19]
	v_mul_f64 v[56:57], v[56:57], v[50:51]
	v_fmac_f64_e32 v[56:57], v[48:49], v[46:47]
	v_cndmask_b32_e64 v67, v68, v56, s[42:43]
	v_cndmask_b32_e64 v68, v70, v56, s[44:45]
	;; [unrolled: 1-line block ×3, first 2 shown]
	scratch_load_dword v19, v14, off
	v_cmp_eq_u32_e64 s[4:5], 2, v37
	v_cndmask_b32_e64 v78, v126, v56, s[36:37]
	v_cndmask_b32_e64 v79, v127, v57, s[36:37]
	;; [unrolled: 1-line block ×7, first 2 shown]
	v_cmp_eq_u32_e64 s[36:37], 4, v21
	v_cmp_eq_u32_e64 s[38:39], 5, v21
	v_cndmask_b32_e64 v66, v66, v56, s[40:41]
	v_cndmask_b32_e64 v16, v16, v103, s[36:37]
	;; [unrolled: 1-line block ×3, first 2 shown]
	v_cmp_eq_u32_e64 s[40:41], 6, v21
	v_cndmask_b32_e64 v71, v71, v57, s[42:43]
	v_cmp_eq_u32_e64 s[42:43], 7, v21
	v_cndmask_b32_e64 v16, v16, v88, s[40:41]
	v_cndmask_b32_e64 v72, v73, v57, s[44:45]
	v_cndmask_b32_e32 v76, v84, v56, vcc
	v_cndmask_b32_e64 v50, v108, v52, s[4:5]
	v_cndmask_b32_e64 v84, v109, v53, s[4:5]
	;; [unrolled: 1-line block ×6, first 2 shown]
	v_cmp_eq_u32_e64 s[4:5], 1, v12
	v_cndmask_b32_e64 v16, v16, v87, s[42:43]
	v_cmp_eq_u32_e64 s[44:45], 8, v21
	v_cmp_eq_u32_e64 s[6:7], 2, v12
	;; [unrolled: 1-line block ×8, first 2 shown]
	v_cndmask_b32_e64 v12, v102, v101, s[4:5]
	v_cndmask_b32_e64 v17, v16, v86, s[44:45]
	;; [unrolled: 1-line block ×18, first 2 shown]
	v_cndmask_b32_e32 v77, v85, v57, vcc
	v_cndmask_b32_e64 v85, v111, v53, s[20:21]
	v_cndmask_b32_e64 v53, v113, v53, s[22:23]
	;; [unrolled: 1-line block ×11, first 2 shown]
	s_waitcnt vmcnt(0)
	v_lshl_add_u32 v13, v19, 2, v13
	scratch_load_dword v46, v13, off
	v_cndmask_b32_e64 v13, v106, v105, s[4:5]
	v_cndmask_b32_e64 v13, v13, v104, s[6:7]
	v_cndmask_b32_e64 v13, v13, v75, s[8:9]
	v_cndmask_b32_e64 v13, v13, v103, s[10:11]
	v_cndmask_b32_e64 v13, v13, v89, s[12:13]
	v_cndmask_b32_e64 v13, v13, v88, s[14:15]
	v_cndmask_b32_e64 v13, v13, v87, s[16:17]
	v_cndmask_b32_e64 v13, v13, v86, s[18:19]
	v_add_f64 v[14:15], -v[12:13], 0
	v_add_f64 v[32:33], v[16:17], -v[12:13]
	v_div_scale_f64 v[40:41], s[24:25], v[32:33], v[32:33], v[14:15]
	v_rcp_f64_e32 v[44:45], v[40:41]
	v_cmp_eq_u32_e64 s[20:21], 3, v19
	v_cmp_eq_u32_e64 s[22:23], 2, v19
	;; [unrolled: 1-line block ×4, first 2 shown]
	s_waitcnt vmcnt(0)
	scratch_store_dword off, v46, off offset:92
	v_fma_f64 v[46:47], -v[40:41], v[44:45], 1.0
	v_fmac_f64_e32 v[44:45], v[44:45], v[46:47]
	v_fma_f64 v[46:47], -v[40:41], v[44:45], 1.0
	v_fmac_f64_e32 v[44:45], v[44:45], v[46:47]
	v_div_scale_f64 v[46:47], vcc, v[14:15], v[32:33], v[14:15]
	v_mul_f64 v[48:49], v[46:47], v[44:45]
	v_fma_f64 v[40:41], -v[40:41], v[48:49], v[46:47]
	s_nop 1
	v_div_fmas_f64 v[40:41], v[40:41], v[44:45], v[48:49]
	v_div_fixup_f64 v[32:33], v[40:41], v[32:33], v[14:15]
	v_cndmask_b32_e64 v14, v53, v85, s[26:27]
	v_cndmask_b32_e64 v14, v14, v84, s[30:31]
	;; [unrolled: 1-line block ×32, first 2 shown]
	v_add_f64 v[44:45], -v[32:33], 1.0
	v_mul_f64 v[14:15], v[14:15], v[44:45]
	v_fmac_f64_e32 v[14:15], v[40:41], v[32:33]
	v_cmp_eq_u32_e32 vcc, 4, v19
	v_cndmask_b32_e64 v109, v84, v15, s[22:23]
	v_cndmask_b32_e64 v111, v85, v15, s[24:25]
	v_cndmask_b32_e32 v41, v59, v15, vcc
	v_cndmask_b32_e32 v40, v58, v14, vcc
	scratch_store_dwordx4 off, v[32:35], off offset:228 ; 16-byte Folded Spill
	s_nop 0
	scratch_store_dwordx4 off, v[36:39], off offset:244 ; 16-byte Folded Spill
	scratch_store_dwordx4 off, v[40:43], off offset:260 ; 16-byte Folded Spill
	;; [unrolled: 1-line block ×7, first 2 shown]
	v_cndmask_b32_e64 v41, v61, v15, s[20:21]
	v_cndmask_b32_e64 v40, v60, v14, s[20:21]
	scratch_store_dwordx4 off, v[34:37], off offset:100 ; 16-byte Folded Spill
	s_nop 0
	scratch_store_dwordx4 off, v[38:41], off offset:116 ; 16-byte Folded Spill
	scratch_store_dwordx4 off, v[42:45], off offset:132 ; 16-byte Folded Spill
	scratch_store_dwordx4 off, v[46:49], off offset:148 ; 16-byte Folded Spill
	scratch_store_dwordx4 off, v[50:53], off offset:164 ; 16-byte Folded Spill
	scratch_store_dwordx4 off, v[54:57], off offset:180 ; 16-byte Folded Spill
	scratch_store_dwordx4 off, v[58:61], off offset:196 ; 16-byte Folded Spill
	scratch_store_dwordx4 off, v[62:65], off offset:212 ; 16-byte Folded Spill
	v_cndmask_b32_e64 v46, v55, v93, s[4:5]
	v_cndmask_b32_e64 v40, v55, v93, s[26:27]
	v_cndmask_b32_e64 v46, v46, v92, s[6:7]
	v_cndmask_b32_e64 v40, v40, v92, s[30:31]
	v_cndmask_b32_e64 v46, v46, v65, s[8:9]
	v_cndmask_b32_e64 v40, v40, v65, s[34:35]
	v_cndmask_b32_e64 v46, v46, v63, s[10:11]
	v_cndmask_b32_e64 v40, v40, v63, s[36:37]
	v_cndmask_b32_e64 v46, v46, v38, s[12:13]
	v_cndmask_b32_e64 v40, v40, v38, s[38:39]
	v_cndmask_b32_e64 v46, v46, v39, s[14:15]
	v_cndmask_b32_e64 v40, v40, v39, s[40:41]
	v_cndmask_b32_e64 v46, v46, v42, s[16:17]
	v_cndmask_b32_e64 v40, v40, v42, s[42:43]
	v_cndmask_b32_e64 v47, v46, v43, s[18:19]
	v_cndmask_b32_e64 v46, v54, v91, s[4:5]
	v_cndmask_b32_e64 v41, v40, v43, s[44:45]
	v_cndmask_b32_e64 v40, v54, v91, s[26:27]
	v_cndmask_b32_e64 v46, v46, v90, s[6:7]
	v_cndmask_b32_e64 v40, v40, v90, s[30:31]
	v_cndmask_b32_e64 v46, v46, v64, s[8:9]
	v_cndmask_b32_e64 v40, v40, v64, s[34:35]
	v_cndmask_b32_e64 v46, v46, v62, s[10:11]
	v_cndmask_b32_e64 v40, v40, v62, s[36:37]
	v_cndmask_b32_e64 v46, v46, v30, s[12:13]
	v_cndmask_b32_e64 v40, v40, v30, s[38:39]
	v_cndmask_b32_e64 v46, v46, v31, s[14:15]
	v_cndmask_b32_e64 v40, v40, v31, s[40:41]
	v_cndmask_b32_e64 v46, v46, v34, s[16:17]
	v_cndmask_b32_e64 v40, v40, v34, s[42:43]
	v_cndmask_b32_e64 v46, v46, v35, s[18:19]
	v_cndmask_b32_e64 v40, v40, v35, s[44:45]
	v_mul_f64 v[46:47], v[46:47], v[44:45]
	v_cndmask_b32_e64 v48, v57, v107, s[4:5]
	v_fmac_f64_e32 v[46:47], v[40:41], v[32:33]
	v_cndmask_b32_e64 v40, v57, v107, s[26:27]
	v_cndmask_b32_e64 v48, v48, v98, s[6:7]
	v_cndmask_b32_e64 v40, v40, v98, s[30:31]
	v_cndmask_b32_e64 v48, v48, v79, s[8:9]
	v_cndmask_b32_e64 v40, v40, v79, s[34:35]
	v_cndmask_b32_e64 v48, v48, v77, s[10:11]
	v_cndmask_b32_e64 v40, v40, v77, s[36:37]
	v_cndmask_b32_e64 v48, v48, v73, s[12:13]
	v_cndmask_b32_e64 v40, v40, v73, s[38:39]
	v_cndmask_b32_e64 v48, v48, v72, s[14:15]
	v_cndmask_b32_e64 v40, v40, v72, s[40:41]
	v_cndmask_b32_e64 v48, v48, v71, s[16:17]
	v_cndmask_b32_e64 v40, v40, v71, s[42:43]
	v_cndmask_b32_e64 v49, v48, v70, s[18:19]
	v_cndmask_b32_e64 v48, v56, v97, s[4:5]
	v_cndmask_b32_e64 v41, v40, v70, s[44:45]
	v_cndmask_b32_e64 v40, v56, v97, s[26:27]
	v_cndmask_b32_e64 v48, v48, v96, s[6:7]
	v_cndmask_b32_e64 v40, v40, v96, s[30:31]
	v_cndmask_b32_e64 v48, v48, v78, s[8:9]
	v_cndmask_b32_e64 v40, v40, v78, s[34:35]
	v_cndmask_b32_e64 v48, v48, v76, s[10:11]
	v_cndmask_b32_e64 v40, v40, v76, s[36:37]
	v_cndmask_b32_e64 v48, v48, v69, s[12:13]
	v_cndmask_b32_e64 v40, v40, v69, s[38:39]
	v_cndmask_b32_e64 v48, v48, v68, s[14:15]
	v_cndmask_b32_e64 v40, v40, v68, s[40:41]
	v_cndmask_b32_e64 v48, v48, v67, s[16:17]
	v_cndmask_b32_e64 v40, v40, v67, s[42:43]
	v_cndmask_b32_e64 v48, v48, v66, s[18:19]
	v_cndmask_b32_e64 v108, v50, v14, s[22:23]
	v_cndmask_b32_e64 v110, v51, v14, s[24:25]
	v_cndmask_b32_e64 v40, v40, v66, s[44:45]
	v_mul_f64 v[50:51], v[48:49], v[44:45]
	v_mul_f64 v[44:45], v[12:13], v[44:45]
	v_cmp_eq_u32_e64 s[8:9], 8, v19
	v_fmac_f64_e32 v[50:51], v[40:41], v[32:33]
	v_fmac_f64_e32 v[44:45], v[16:17], v[32:33]
	v_mov_b32_e32 v13, v37
	v_cndmask_b32_e64 v17, v29, v15, s[8:9]
	v_cndmask_b32_e64 v113, v53, v15, s[28:29]
	;; [unrolled: 1-line block ×3, first 2 shown]
	v_cndmask_b32_e32 v95, v63, v47, vcc
	v_cndmask_b32_e32 v94, v62, v46, vcc
	;; [unrolled: 1-line block ×6, first 2 shown]
	v_cmp_eq_u32_e32 vcc, 7, v19
	v_cmp_eq_u32_e64 s[4:5], 6, v19
	v_cmp_eq_u32_e64 s[6:7], 5, v19
	scratch_store_dwordx4 off, v[0:3], off offset:1892 ; 16-byte Folded Spill
	s_nop 0
	scratch_store_dwordx4 off, v[4:7], off offset:1908 ; 16-byte Folded Spill
	scratch_store_dwordx4 off, v[8:11], off offset:1924 ; 16-byte Folded Spill
	;; [unrolled: 1-line block ×7, first 2 shown]
	v_cndmask_b32_e64 v49, v65, v47, s[20:21]
	v_cndmask_b32_e64 v48, v64, v46, s[20:21]
	;; [unrolled: 1-line block ×25, first 2 shown]
	v_cndmask_b32_e32 v41, v87, v45, vcc
	v_cndmask_b32_e64 v232, v83, v44, s[6:7]
	v_cndmask_b32_e64 v16, v22, v14, s[8:9]
	scratch_store_dwordx4 off, v[0:3], off offset:2148 ; 16-byte Folded Spill
	s_nop 0
	scratch_store_dwordx4 off, v[4:7], off offset:2164 ; 16-byte Folded Spill
	scratch_store_dwordx4 off, v[8:11], off offset:2180 ; 16-byte Folded Spill
	;; [unrolled: 1-line block ×7, first 2 shown]
	v_cndmask_b32_e32 v17, v28, v15, vcc
	scratch_store_dwordx4 off, v[2:5], off offset:2020 ; 16-byte Folded Spill
	s_nop 0
	scratch_store_dwordx4 off, v[6:9], off offset:2036 ; 16-byte Folded Spill
	scratch_store_dwordx4 off, v[10:13], off offset:2052 ; 16-byte Folded Spill
	;; [unrolled: 1-line block ×7, first 2 shown]
	v_cndmask_b32_e32 v16, v23, v14, vcc
	scratch_store_dwordx4 off, v[2:5], off offset:1508 ; 16-byte Folded Spill
	s_nop 0
	scratch_store_dwordx4 off, v[6:9], off offset:1524 ; 16-byte Folded Spill
	scratch_store_dwordx4 off, v[10:13], off offset:1540 ; 16-byte Folded Spill
	;; [unrolled: 1-line block ×7, first 2 shown]
	v_cndmask_b32_e64 v17, v27, v15, s[4:5]
	scratch_store_dwordx4 off, v[4:7], off offset:1380 ; 16-byte Folded Spill
	s_nop 0
	scratch_store_dwordx4 off, v[8:11], off offset:1396 ; 16-byte Folded Spill
	scratch_store_dwordx4 off, v[12:15], off offset:1412 ; 16-byte Folded Spill
	;; [unrolled: 1-line block ×7, first 2 shown]
	v_cndmask_b32_e64 v12, v24, v14, s[4:5]
	scratch_store_dwordx4 off, v[0:3], off offset:1636 ; 16-byte Folded Spill
	s_nop 0
	scratch_store_dwordx4 off, v[4:7], off offset:1652 ; 16-byte Folded Spill
	scratch_store_dwordx4 off, v[8:11], off offset:1668 ; 16-byte Folded Spill
	;; [unrolled: 1-line block ×7, first 2 shown]
	v_cndmask_b32_e32 v212, v34, v46, vcc
	v_cndmask_b32_e64 v15, v26, v15, s[6:7]
	v_cndmask_b32_e64 v12, v25, v14, s[6:7]
	v_accvgpr_write_b32 a181, v15
	scratch_store_dwordx4 off, v[2:5], off offset:1764 ; 16-byte Folded Spill
	s_nop 0
	scratch_store_dwordx4 off, v[6:9], off offset:1780 ; 16-byte Folded Spill
	scratch_store_dwordx4 off, v[10:13], off offset:1796 ; 16-byte Folded Spill
	;; [unrolled: 1-line block ×7, first 2 shown]
	v_cndmask_b32_e64 v17, v43, v47, s[8:9]
	scratch_store_dwordx4 off, v[0:3], off offset:740 ; 16-byte Folded Spill
	s_nop 0
	scratch_store_dwordx4 off, v[4:7], off offset:756 ; 16-byte Folded Spill
	scratch_store_dwordx4 off, v[8:11], off offset:772 ; 16-byte Folded Spill
	;; [unrolled: 1-line block ×7, first 2 shown]
	v_cndmask_b32_e64 v16, v35, v46, s[8:9]
	v_cndmask_b32_e32 v15, v42, v47, vcc
	v_accvgpr_write_b32 a34, v16
	scratch_store_dwordx4 off, v[0:3], off offset:1124 ; 16-byte Folded Spill
	s_nop 0
	scratch_store_dwordx4 off, v[4:7], off offset:1140 ; 16-byte Folded Spill
	scratch_store_dwordx4 off, v[8:11], off offset:1156 ; 16-byte Folded Spill
	;; [unrolled: 1-line block ×7, first 2 shown]
	v_cndmask_b32_e64 v15, v39, v47, s[4:5]
	scratch_store_dwordx4 off, v[2:5], off offset:996 ; 16-byte Folded Spill
	s_nop 0
	scratch_store_dwordx4 off, v[6:9], off offset:1012 ; 16-byte Folded Spill
	scratch_store_dwordx4 off, v[10:13], off offset:1028 ; 16-byte Folded Spill
	;; [unrolled: 1-line block ×7, first 2 shown]
	v_cndmask_b32_e64 v15, v38, v47, s[6:7]
	s_nop 0
	v_cndmask_b32_e64 v32, v31, v46, s[4:5]
	scratch_store_dwordx4 off, v[4:7], off offset:1252 ; 16-byte Folded Spill
	s_nop 0
	scratch_store_dwordx4 off, v[8:11], off offset:1268 ; 16-byte Folded Spill
	scratch_store_dwordx4 off, v[12:15], off offset:1284 ; 16-byte Folded Spill
	scratch_store_dwordx4 off, v[16:19], off offset:1300 ; 16-byte Folded Spill
	scratch_store_dwordx4 off, v[20:23], off offset:1316 ; 16-byte Folded Spill
	scratch_store_dwordx4 off, v[24:27], off offset:1332 ; 16-byte Folded Spill
	scratch_store_dwordx4 off, v[28:31], off offset:1348 ; 16-byte Folded Spill
	scratch_store_dwordx4 off, v[32:35], off offset:1364 ; 16-byte Folded Spill
	v_cndmask_b32_e64 v12, v30, v46, s[6:7]
	scratch_store_dwordx4 off, v[2:5], off offset:868 ; 16-byte Folded Spill
	s_nop 0
	scratch_store_dwordx4 off, v[6:9], off offset:884 ; 16-byte Folded Spill
	scratch_store_dwordx4 off, v[10:13], off offset:900 ; 16-byte Folded Spill
	scratch_store_dwordx4 off, v[14:17], off offset:916 ; 16-byte Folded Spill
	scratch_store_dwordx4 off, v[18:21], off offset:932 ; 16-byte Folded Spill
	scratch_store_dwordx4 off, v[22:25], off offset:948 ; 16-byte Folded Spill
	scratch_store_dwordx4 off, v[26:29], off offset:964 ; 16-byte Folded Spill
	scratch_store_dwordx4 off, v[30:33], off offset:980 ; 16-byte Folded Spill
	;; [unrolled: 10-line block ×4, first 2 shown]
	v_cndmask_b32_e32 v15, v71, v51, vcc
	v_accvgpr_write_b32 a97, v15
	v_cndmask_b32_e32 v14, v67, v50, vcc
	v_cndmask_b32_e64 v15, v72, v51, s[4:5]
	v_cndmask_b32_e64 v12, v68, v50, s[4:5]
	v_accvgpr_write_b32 a64, v14
	v_accvgpr_write_b32 a111, v15
	scratch_store_dwordx4 off, v[0:3], off offset:484 ; 16-byte Folded Spill
	s_nop 0
	scratch_store_dwordx4 off, v[4:7], off offset:500 ; 16-byte Folded Spill
	scratch_store_dwordx4 off, v[8:11], off offset:516 ; 16-byte Folded Spill
	;; [unrolled: 1-line block ×7, first 2 shown]
	v_cndmask_b32_e64 v15, v73, v51, s[6:7]
	v_accvgpr_write_b32 a123, v15
	v_cndmask_b32_e64 v15, v88, v45, s[4:5]
	v_cndmask_b32_e64 v17, v86, v45, s[8:9]
	;; [unrolled: 1-line block ×3, first 2 shown]
	v_cndmask_b32_e32 v14, v81, v44, vcc
	v_accvgpr_write_b32 a157, v15
	v_cndmask_b32_e64 v12, v82, v44, s[4:5]
	v_cndmask_b32_e64 v15, v89, v45, s[6:7]
	v_accvgpr_write_b32 a17, v17
	v_accvgpr_write_b32 a206, v16
	;; [unrolled: 1-line block ×5, first 2 shown]
.LBB2_106:
	s_or_b64 exec, exec, s[52:53]
	scratch_store_dword off, v18, off offset:88
	s_mov_b64 s[14:15], exec
	s_and_b64 s[0:1], s[14:15], s[0:1]
	v_mov_b32_e32 v44, v32
	s_mov_b64 exec, s[0:1]
	s_cbranch_execz .LBB2_115
; %bb.107:
	s_mov_b64 s[16:17], 0
	v_mov_b32_e32 v12, 0
	s_branch .LBB2_109
.LBB2_108:                              ;   in Loop: Header=BB2_109 Depth=1
	s_or_b64 exec, exec, s[4:5]
	s_waitcnt vmcnt(0)
	v_cmp_gt_i32_e32 vcc, 0, v15
	s_or_b64 s[16:17], vcc, s[16:17]
	v_mov_b32_e32 v36, v15
	s_andn2_b64 exec, exec, s[16:17]
	s_cbranch_execz .LBB2_115
.LBB2_109:                              ; =>This Inner Loop Header: Depth=1
	v_cmp_eq_u32_e32 vcc, 1, v36
	v_cmp_eq_u32_e64 s[0:1], 2, v36
	v_cmp_eq_u32_e64 s[4:5], 3, v36
	v_cndmask_b32_e32 v15, v189, v175, vcc
	v_cndmask_b32_e32 v16, v188, v174, vcc
	v_cndmask_b32_e64 v15, v15, v183, s[0:1]
	v_cndmask_b32_e64 v16, v16, v182, s[0:1]
	;; [unrolled: 1-line block ×3, first 2 shown]
	v_cmp_eq_u32_e64 s[6:7], 4, v36
	v_cndmask_b32_e64 v16, v16, v196, s[4:5]
	v_cmp_eq_u32_e64 s[8:9], 5, v36
	v_cndmask_b32_e64 v15, v15, v119, s[6:7]
	v_accvgpr_read_b32 v17, a169
	v_cndmask_b32_e64 v16, v16, v118, s[6:7]
	v_cndmask_b32_e64 v15, v15, v17, s[8:9]
	v_cmp_eq_u32_e64 s[10:11], 6, v36
	v_accvgpr_read_b32 v17, a157
	v_cndmask_b32_e64 v16, v16, v232, s[8:9]
	v_accvgpr_read_b32 v14, a236
	v_cndmask_b32_e64 v15, v15, v17, s[10:11]
	v_cmp_eq_u32_e64 s[12:13], 7, v36
	v_cndmask_b32_e64 v16, v16, v14, s[10:11]
	v_accvgpr_read_b32 v14, a222
	v_cndmask_b32_e64 v15, v15, v41, s[12:13]
	v_cndmask_b32_e64 v16, v16, v14, s[12:13]
	v_cmp_eq_u32_e32 vcc, 8, v36
	v_accvgpr_read_b32 v17, a17
	v_accvgpr_read_b32 v18, a206
	v_cndmask_b32_e32 v17, v15, v17, vcc
	v_cndmask_b32_e32 v16, v16, v18, vcc
	v_cmp_ngt_f64_e32 vcc, 0, v[16:17]
	v_lshl_add_u32 v17, v36, 2, v12
	scratch_load_dword v15, v17, off
	s_mov_b64 s[0:1], 0
                                        ; implicit-def: $vgpr16
	s_and_saveexec_b64 s[4:5], vcc
	s_xor_b64 s[4:5], exec, s[4:5]
	s_cbranch_execnz .LBB2_112
; %bb.110:                              ;   in Loop: Header=BB2_109 Depth=1
	s_andn2_saveexec_b64 s[4:5], s[4:5]
	s_cbranch_execnz .LBB2_113
.LBB2_111:                              ;   in Loop: Header=BB2_109 Depth=1
	s_or_b64 exec, exec, s[4:5]
	s_and_saveexec_b64 s[4:5], s[0:1]
	s_cbranch_execz .LBB2_108
	s_branch .LBB2_114
.LBB2_112:                              ;   in Loop: Header=BB2_109 Depth=1
	scratch_load_dword v16, off, off offset:88
                                        ; implicit-def: $vgpr17
	s_waitcnt vmcnt(0)
	v_cmp_eq_u32_e32 vcc, -1, v16
	v_mov_b32_e32 v16, 0x58
	s_and_b64 s[0:1], vcc, exec
	s_andn2_saveexec_b64 s[4:5], s[4:5]
	s_cbranch_execz .LBB2_111
.LBB2_113:                              ;   in Loop: Header=BB2_109 Depth=1
	scratch_load_dword v18, off, off offset:92
	v_mov_b32_e32 v16, 0x5c
	s_or_b64 s[0:1], s[0:1], exec
	s_waitcnt vmcnt(0)
	scratch_store_dword v17, v18, off
	s_or_b64 exec, exec, s[4:5]
	s_and_saveexec_b64 s[4:5], s[0:1]
	s_cbranch_execz .LBB2_108
.LBB2_114:                              ;   in Loop: Header=BB2_109 Depth=1
	scratch_store_dword v16, v36, off
	s_branch .LBB2_108
.LBB2_115:
	s_or_b64 exec, exec, s[14:15]
	s_and_saveexec_b64 s[0:1], s[2:3]
	s_cbranch_execz .LBB2_117
; %bb.116:
	v_max_f64 v[8:9], v[8:9], v[8:9]
	v_max_f64 v[10:11], v[10:11], v[10:11]
	v_mov_b32_e32 v12, 0
	v_min_f64 v[8:9], v[10:11], v[8:9]
	v_cmp_ngt_f64_e32 vcc, 0, v[8:9]
	v_lshl_add_u32 v10, v20, 2, v12
	v_lshl_add_u32 v14, v19, 2, v12
	v_cndmask_b32_e32 v8, -1, v21, vcc
	v_lshl_add_u32 v9, v13, 2, v12
	scratch_store_dword v10, v13, off
	scratch_store_dword v9, v19, off
	scratch_store_dword v14, v8, off
.LBB2_117:
	s_or_b64 exec, exec, s[0:1]
	scratch_load_dword v8, off, off offset:88
	s_waitcnt vmcnt(0)
	v_cmp_lt_i32_e32 vcc, -1, v8
	s_and_saveexec_b64 s[16:17], vcc
	s_cbranch_execz .LBB2_121
; %bb.118:
	scratch_load_dwordx4 v[12:15], off, off offset:100 ; 16-byte Folded Reload
	scratch_load_dwordx4 v[16:19], off, off offset:116 ; 16-byte Folded Reload
	scratch_load_dwordx4 v[20:23], off, off offset:132 ; 16-byte Folded Reload
	scratch_load_dwordx4 v[24:27], off, off offset:148 ; 16-byte Folded Reload
	scratch_load_dwordx4 v[28:31], off, off offset:164 ; 16-byte Folded Reload
	scratch_load_dwordx4 v[32:35], off, off offset:180 ; 16-byte Folded Reload
	scratch_load_dwordx4 v[36:39], off, off offset:196 ; 16-byte Folded Reload
	scratch_load_dwordx4 v[40:43], off, off offset:212 ; 16-byte Folded Reload
	scratch_load_dwordx4 v[50:53], off, off offset:228 ; 16-byte Folded Reload
	scratch_load_dwordx4 v[54:57], off, off offset:244 ; 16-byte Folded Reload
	scratch_load_dwordx4 v[58:61], off, off offset:260 ; 16-byte Folded Reload
	scratch_load_dwordx4 v[62:65], off, off offset:276 ; 16-byte Folded Reload
	scratch_load_dwordx4 v[66:69], off, off offset:292 ; 16-byte Folded Reload
	scratch_load_dwordx4 v[70:73], off, off offset:308 ; 16-byte Folded Reload
	scratch_load_dwordx4 v[74:77], off, off offset:324 ; 16-byte Folded Reload
	scratch_load_dwordx4 v[78:81], off, off offset:340 ; 16-byte Folded Reload
	s_mov_b64 s[18:19], 0
	v_mov_b32_e32 v9, 0
	v_mov_b32_e32 v10, v8
	s_waitcnt vmcnt(13)
	v_accvgpr_read_b32 v23, a97
	s_waitcnt vmcnt(12)
	v_accvgpr_read_b32 v25, a111
	v_accvgpr_read_b32 v27, a123
	v_accvgpr_read_b32 v22, a64
	v_accvgpr_read_b32 v26, a34
	s_waitcnt vmcnt(8)
	v_accvgpr_read_b32 v43, a181
	v_mov_b64_e32 v[16:17], v[18:19]
	s_waitcnt vmcnt(5)
	v_mov_b64_e32 v[18:19], v[58:59]
	scratch_load_dwordx4 v[50:53], off, off offset:356 ; 16-byte Folded Reload
	scratch_load_dwordx4 v[54:57], off, off offset:372 ; 16-byte Folded Reload
	scratch_load_dwordx4 v[58:61], off, off offset:388 ; 16-byte Folded Reload
	scratch_load_dwordx4 v[62:65], off, off offset:404 ; 16-byte Folded Reload
	scratch_load_dwordx4 v[66:69], off, off offset:420 ; 16-byte Folded Reload
	scratch_load_dwordx4 v[70:73], off, off offset:436 ; 16-byte Folded Reload
	scratch_load_dwordx4 v[74:77], off, off offset:452 ; 16-byte Folded Reload
	scratch_load_dwordx4 v[78:81], off, off offset:468 ; 16-byte Folded Reload
	s_waitcnt vmcnt(3)
	v_mov_b32_e32 v21, v67
	scratch_load_dwordx4 v[50:53], off, off offset:612 ; 16-byte Folded Reload
	scratch_load_dwordx4 v[54:57], off, off offset:628 ; 16-byte Folded Reload
	scratch_load_dwordx4 v[58:61], off, off offset:644 ; 16-byte Folded Reload
	scratch_load_dwordx4 v[62:65], off, off offset:660 ; 16-byte Folded Reload
	scratch_load_dwordx4 v[66:69], off, off offset:676 ; 16-byte Folded Reload
	scratch_load_dwordx4 v[70:73], off, off offset:692 ; 16-byte Folded Reload
	scratch_load_dwordx4 v[74:77], off, off offset:708 ; 16-byte Folded Reload
	scratch_load_dwordx4 v[78:81], off, off offset:724 ; 16-byte Folded Reload
	s_waitcnt vmcnt(3)
	v_mov_b32_e32 v20, v66
	scratch_load_dwordx4 v[50:53], off, off offset:484 ; 16-byte Folded Reload
	scratch_load_dwordx4 v[54:57], off, off offset:500 ; 16-byte Folded Reload
	scratch_load_dwordx4 v[58:61], off, off offset:516 ; 16-byte Folded Reload
	scratch_load_dwordx4 v[62:65], off, off offset:532 ; 16-byte Folded Reload
	scratch_load_dwordx4 v[66:69], off, off offset:548 ; 16-byte Folded Reload
	scratch_load_dwordx4 v[70:73], off, off offset:564 ; 16-byte Folded Reload
	scratch_load_dwordx4 v[74:77], off, off offset:580 ; 16-byte Folded Reload
	scratch_load_dwordx4 v[78:81], off, off offset:596 ; 16-byte Folded Reload
	s_waitcnt vmcnt(4)
	v_mov_b32_e32 v24, v62
	scratch_load_dwordx4 v[50:53], off, off offset:740 ; 16-byte Folded Reload
	scratch_load_dwordx4 v[54:57], off, off offset:756 ; 16-byte Folded Reload
	scratch_load_dwordx4 v[58:61], off, off offset:772 ; 16-byte Folded Reload
	scratch_load_dwordx4 v[62:65], off, off offset:788 ; 16-byte Folded Reload
	scratch_load_dwordx4 v[66:69], off, off offset:804 ; 16-byte Folded Reload
	scratch_load_dwordx4 v[70:73], off, off offset:820 ; 16-byte Folded Reload
	scratch_load_dwordx4 v[74:77], off, off offset:836 ; 16-byte Folded Reload
	scratch_load_dwordx4 v[78:81], off, off offset:852 ; 16-byte Folded Reload
	s_waitcnt vmcnt(3)
	v_mov_b32_e32 v29, v67
	scratch_load_dwordx4 v[50:53], off, off offset:1124 ; 16-byte Folded Reload
	scratch_load_dwordx4 v[54:57], off, off offset:1140 ; 16-byte Folded Reload
	scratch_load_dwordx4 v[58:61], off, off offset:1156 ; 16-byte Folded Reload
	scratch_load_dwordx4 v[62:65], off, off offset:1172 ; 16-byte Folded Reload
	scratch_load_dwordx4 v[66:69], off, off offset:1188 ; 16-byte Folded Reload
	scratch_load_dwordx4 v[70:73], off, off offset:1204 ; 16-byte Folded Reload
	scratch_load_dwordx4 v[74:77], off, off offset:1220 ; 16-byte Folded Reload
	scratch_load_dwordx4 v[78:81], off, off offset:1236 ; 16-byte Folded Reload
	s_waitcnt vmcnt(4)
	v_mov_b32_e32 v31, v65
	scratch_load_dwordx4 v[50:53], off, off offset:996 ; 16-byte Folded Reload
	scratch_load_dwordx4 v[54:57], off, off offset:1012 ; 16-byte Folded Reload
	scratch_load_dwordx4 v[58:61], off, off offset:1028 ; 16-byte Folded Reload
	scratch_load_dwordx4 v[62:65], off, off offset:1044 ; 16-byte Folded Reload
	scratch_load_dwordx4 v[66:69], off, off offset:1060 ; 16-byte Folded Reload
	scratch_load_dwordx4 v[70:73], off, off offset:1076 ; 16-byte Folded Reload
	scratch_load_dwordx4 v[74:77], off, off offset:1092 ; 16-byte Folded Reload
	scratch_load_dwordx4 v[78:81], off, off offset:1108 ; 16-byte Folded Reload
	s_waitcnt vmcnt(4)
	v_mov_b32_e32 v33, v63
	scratch_load_dwordx4 v[50:53], off, off offset:1252 ; 16-byte Folded Reload
	scratch_load_dwordx4 v[54:57], off, off offset:1268 ; 16-byte Folded Reload
	scratch_load_dwordx4 v[58:61], off, off offset:1284 ; 16-byte Folded Reload
	scratch_load_dwordx4 v[62:65], off, off offset:1300 ; 16-byte Folded Reload
	scratch_load_dwordx4 v[66:69], off, off offset:1316 ; 16-byte Folded Reload
	scratch_load_dwordx4 v[70:73], off, off offset:1332 ; 16-byte Folded Reload
	scratch_load_dwordx4 v[74:77], off, off offset:1348 ; 16-byte Folded Reload
	scratch_load_dwordx4 v[78:81], off, off offset:1364 ; 16-byte Folded Reload
	s_waitcnt vmcnt(5)
	v_mov_b32_e32 v35, v61
	scratch_load_dwordx4 v[50:53], off, off offset:868 ; 16-byte Folded Reload
	scratch_load_dwordx4 v[54:57], off, off offset:884 ; 16-byte Folded Reload
	scratch_load_dwordx4 v[58:61], off, off offset:900 ; 16-byte Folded Reload
	scratch_load_dwordx4 v[62:65], off, off offset:916 ; 16-byte Folded Reload
	scratch_load_dwordx4 v[66:69], off, off offset:932 ; 16-byte Folded Reload
	scratch_load_dwordx4 v[70:73], off, off offset:948 ; 16-byte Folded Reload
	scratch_load_dwordx4 v[74:77], off, off offset:964 ; 16-byte Folded Reload
	scratch_load_dwordx4 v[78:81], off, off offset:980 ; 16-byte Folded Reload
	s_waitcnt vmcnt(5)
	v_mov_b32_e32 v28, v60
	scratch_load_dwordx4 v[50:53], off, off offset:1892 ; 16-byte Folded Reload
	scratch_load_dwordx4 v[54:57], off, off offset:1908 ; 16-byte Folded Reload
	scratch_load_dwordx4 v[58:61], off, off offset:1924 ; 16-byte Folded Reload
	scratch_load_dwordx4 v[62:65], off, off offset:1940 ; 16-byte Folded Reload
	scratch_load_dwordx4 v[66:69], off, off offset:1956 ; 16-byte Folded Reload
	scratch_load_dwordx4 v[70:73], off, off offset:1972 ; 16-byte Folded Reload
	scratch_load_dwordx4 v[74:77], off, off offset:1988 ; 16-byte Folded Reload
	scratch_load_dwordx4 v[78:81], off, off offset:2004 ; 16-byte Folded Reload
	s_waitcnt vmcnt(3)
	v_mov_b32_e32 v37, v67
	scratch_load_dwordx4 v[50:53], off, off offset:2020 ; 16-byte Folded Reload
	scratch_load_dwordx4 v[54:57], off, off offset:2036 ; 16-byte Folded Reload
	scratch_load_dwordx4 v[58:61], off, off offset:2052 ; 16-byte Folded Reload
	scratch_load_dwordx4 v[62:65], off, off offset:2068 ; 16-byte Folded Reload
	scratch_load_dwordx4 v[66:69], off, off offset:2084 ; 16-byte Folded Reload
	scratch_load_dwordx4 v[70:73], off, off offset:2100 ; 16-byte Folded Reload
	scratch_load_dwordx4 v[74:77], off, off offset:2116 ; 16-byte Folded Reload
	scratch_load_dwordx4 v[78:81], off, off offset:2132 ; 16-byte Folded Reload
	s_waitcnt vmcnt(4)
	v_mov_b32_e32 v39, v65
	scratch_load_dwordx4 v[50:53], off, off offset:1380 ; 16-byte Folded Reload
	scratch_load_dwordx4 v[54:57], off, off offset:1396 ; 16-byte Folded Reload
	scratch_load_dwordx4 v[58:61], off, off offset:1412 ; 16-byte Folded Reload
	scratch_load_dwordx4 v[62:65], off, off offset:1428 ; 16-byte Folded Reload
	scratch_load_dwordx4 v[66:69], off, off offset:1444 ; 16-byte Folded Reload
	scratch_load_dwordx4 v[70:73], off, off offset:1460 ; 16-byte Folded Reload
	scratch_load_dwordx4 v[74:77], off, off offset:1476 ; 16-byte Folded Reload
	scratch_load_dwordx4 v[78:81], off, off offset:1492 ; 16-byte Folded Reload
	s_waitcnt vmcnt(4)
	v_mov_b32_e32 v41, v63
	scratch_load_dwordx4 v[50:53], off, off offset:2148 ; 16-byte Folded Reload
	scratch_load_dwordx4 v[54:57], off, off offset:2164 ; 16-byte Folded Reload
	scratch_load_dwordx4 v[58:61], off, off offset:2180 ; 16-byte Folded Reload
	scratch_load_dwordx4 v[62:65], off, off offset:2196 ; 16-byte Folded Reload
	scratch_load_dwordx4 v[66:69], off, off offset:2212 ; 16-byte Folded Reload
	scratch_load_dwordx4 v[70:73], off, off offset:2228 ; 16-byte Folded Reload
	scratch_load_dwordx4 v[74:77], off, off offset:2244 ; 16-byte Folded Reload
	scratch_load_dwordx4 v[78:81], off, off offset:2260 ; 16-byte Folded Reload
	s_waitcnt vmcnt(3)
	v_mov_b32_e32 v30, v66
	scratch_load_dwordx4 v[50:53], off, off offset:1508 ; 16-byte Folded Reload
	scratch_load_dwordx4 v[54:57], off, off offset:1524 ; 16-byte Folded Reload
	scratch_load_dwordx4 v[58:61], off, off offset:1540 ; 16-byte Folded Reload
	scratch_load_dwordx4 v[62:65], off, off offset:1556 ; 16-byte Folded Reload
	scratch_load_dwordx4 v[66:69], off, off offset:1572 ; 16-byte Folded Reload
	scratch_load_dwordx4 v[70:73], off, off offset:1588 ; 16-byte Folded Reload
	scratch_load_dwordx4 v[74:77], off, off offset:1604 ; 16-byte Folded Reload
	scratch_load_dwordx4 v[78:81], off, off offset:1620 ; 16-byte Folded Reload
	s_waitcnt vmcnt(4)
	v_mov_b32_e32 v32, v64
	scratch_load_dwordx4 v[50:53], off, off offset:1636 ; 16-byte Folded Reload
	scratch_load_dwordx4 v[54:57], off, off offset:1652 ; 16-byte Folded Reload
	scratch_load_dwordx4 v[58:61], off, off offset:1668 ; 16-byte Folded Reload
	scratch_load_dwordx4 v[62:65], off, off offset:1684 ; 16-byte Folded Reload
	scratch_load_dwordx4 v[66:69], off, off offset:1700 ; 16-byte Folded Reload
	scratch_load_dwordx4 v[70:73], off, off offset:1716 ; 16-byte Folded Reload
	scratch_load_dwordx4 v[74:77], off, off offset:1732 ; 16-byte Folded Reload
	scratch_load_dwordx4 v[78:81], off, off offset:1748 ; 16-byte Folded Reload
	s_waitcnt vmcnt(4)
	v_mov_b32_e32 v34, v62
	scratch_load_dwordx4 v[50:53], off, off offset:1764 ; 16-byte Folded Reload
	scratch_load_dwordx4 v[54:57], off, off offset:1780 ; 16-byte Folded Reload
	scratch_load_dwordx4 v[58:61], off, off offset:1796 ; 16-byte Folded Reload
	scratch_load_dwordx4 v[62:65], off, off offset:1812 ; 16-byte Folded Reload
	scratch_load_dwordx4 v[66:69], off, off offset:1828 ; 16-byte Folded Reload
	scratch_load_dwordx4 v[70:73], off, off offset:1844 ; 16-byte Folded Reload
	scratch_load_dwordx4 v[74:77], off, off offset:1860 ; 16-byte Folded Reload
	scratch_load_dwordx4 v[78:81], off, off offset:1876 ; 16-byte Folded Reload
	s_waitcnt vmcnt(5)
	v_mov_b32_e32 v36, v60
.LBB2_119:                              ; =>This Inner Loop Header: Depth=1
	v_cmp_eq_u32_e32 vcc, 1, v10
	v_cmp_eq_u32_e64 s[0:1], 2, v10
	v_cmp_eq_u32_e64 s[2:3], 3, v10
	;; [unrolled: 1-line block ×8, first 2 shown]
	v_lshl_add_u32 v10, v10, 2, v9
	scratch_load_dword v10, v10, off
	v_cndmask_b32_e32 v11, v113, v111, vcc
	v_cndmask_b32_e64 v11, v11, v109, s[0:1]
	v_cndmask_b32_e64 v11, v11, v17, s[2:3]
	;; [unrolled: 1-line block ×5, first 2 shown]
	v_cndmask_b32_e32 v12, v112, v110, vcc
	v_cndmask_b32_e64 v11, v11, v39, s[10:11]
	v_cndmask_b32_e64 v12, v12, v108, s[0:1]
	;; [unrolled: 1-line block ×3, first 2 shown]
	v_cndmask_b32_e32 v11, v179, v117, vcc
	v_cndmask_b32_e32 v14, v178, v116, vcc
	v_cndmask_b32_e64 v12, v12, v16, s[2:3]
	v_cndmask_b32_e64 v11, v11, v115, s[0:1]
	;; [unrolled: 1-line block ×20, first 2 shown]
	v_add_f64 v[12:13], -v[12:13], 1.0
	v_add_f64 v[12:13], v[12:13], -v[14:15]
	v_cndmask_b32_e32 v255, v255, v13, vcc
	v_cndmask_b32_e32 v254, v254, v12, vcc
	v_cndmask_b32_e64 v21, v21, v13, s[12:13]
	v_cndmask_b32_e64 v20, v20, v12, s[12:13]
	;; [unrolled: 1-line block ×16, first 2 shown]
	s_waitcnt vmcnt(0)
	v_cmp_gt_i32_e32 vcc, 0, v10
	s_or_b64 s[18:19], vcc, s[18:19]
	s_andn2_b64 exec, exec, s[18:19]
	s_cbranch_execnz .LBB2_119
; %bb.120:
	s_or_b64 exec, exec, s[18:19]
	scratch_store_dwordx4 off, v[12:15], off offset:484 ; 16-byte Folded Spill
	s_nop 0
	scratch_store_dwordx4 off, v[16:19], off offset:500 ; 16-byte Folded Spill
	scratch_store_dwordx4 off, v[20:23], off offset:516 ; 16-byte Folded Spill
	;; [unrolled: 1-line block ×7, first 2 shown]
	v_accvgpr_write_b32 a64, v22
	scratch_store_dwordx4 off, v[4:7], off offset:612 ; 16-byte Folded Spill
	s_nop 0
	scratch_store_dwordx4 off, v[8:11], off offset:628 ; 16-byte Folded Spill
	scratch_store_dwordx4 off, v[12:15], off offset:644 ; 16-byte Folded Spill
	;; [unrolled: 1-line block ×7, first 2 shown]
	v_accvgpr_write_b32 a123, v27
	v_accvgpr_write_b32 a111, v25
	;; [unrolled: 1-line block ×3, first 2 shown]
	scratch_store_dwordx4 off, v[4:7], off offset:356 ; 16-byte Folded Spill
	s_nop 0
	scratch_store_dwordx4 off, v[8:11], off offset:372 ; 16-byte Folded Spill
	scratch_store_dwordx4 off, v[12:15], off offset:388 ; 16-byte Folded Spill
	;; [unrolled: 1-line block ×7, first 2 shown]
.LBB2_121:
	s_or_b64 exec, exec, s[16:17]
	v_cmp_lt_i32_e32 vcc, -1, v8
	s_and_saveexec_b64 s[14:15], vcc
	s_cbranch_execz .LBB2_127
; %bb.122:
	v_mov_b32_e32 v30, 0
	v_lshl_add_u32 v9, v8, 2, v30
	scratch_load_dword v14, v9, off
	s_waitcnt vmcnt(0)
	v_lshl_add_u32 v9, v14, 2, v30
	scratch_load_dword v31, v9, off
	s_waitcnt vmcnt(0)
	v_cmp_lt_i32_e32 vcc, -1, v31
	s_and_saveexec_b64 s[16:17], vcc
	s_cbranch_execz .LBB2_126
; %bb.123:
	scratch_load_dwordx4 v[50:53], off, off offset:100 ; 16-byte Folded Reload
	scratch_load_dwordx4 v[54:57], off, off offset:116 ; 16-byte Folded Reload
	;; [unrolled: 1-line block ×8, first 2 shown]
	v_cmp_eq_u32_e32 vcc, 1, v8
	v_cmp_eq_u32_e64 s[0:1], 2, v8
	v_cmp_eq_u32_e64 s[2:3], 3, v8
	v_cndmask_b32_e32 v10, v179, v117, vcc
	v_cndmask_b32_e32 v11, v178, v116, vcc
	v_cndmask_b32_e64 v10, v10, v115, s[0:1]
	v_cndmask_b32_e64 v11, v11, v114, s[0:1]
	v_cmp_eq_u32_e64 s[4:5], 4, v8
	v_cndmask_b32_e64 v10, v10, v49, s[2:3]
	v_cndmask_b32_e64 v11, v11, v48, s[2:3]
	v_cmp_eq_u32_e64 s[6:7], 5, v8
	v_cndmask_b32_e64 v10, v10, v95, s[4:5]
	v_cndmask_b32_e64 v11, v11, v94, s[4:5]
	v_mov_b32_e32 v40, v44
	v_cmp_eq_u32_e64 s[8:9], 6, v8
	v_cmp_eq_u32_e64 s[10:11], 7, v8
	;; [unrolled: 1-line block ×3, first 2 shown]
	v_cndmask_b32_e32 v9, v113, v111, vcc
	v_cndmask_b32_e32 v8, v112, v110, vcc
	;; [unrolled: 1-line block ×3, first 2 shown]
	v_cndmask_b32_e64 v9, v9, v109, s[0:1]
	v_cndmask_b32_e64 v8, v8, v108, s[0:1]
	;; [unrolled: 1-line block ×6, first 2 shown]
	s_mov_b64 s[18:19], 0
	s_waitcnt vmcnt(6)
	v_mov_b64_e32 v[50:51], v[56:57]
	scratch_load_dwordx4 v[52:55], off, off offset:228 ; 16-byte Folded Reload
	scratch_load_dwordx4 v[56:59], off, off offset:244 ; 16-byte Folded Reload
	;; [unrolled: 1-line block ×16, first 2 shown]
	v_cndmask_b32_e64 v9, v9, v51, s[2:3]
	v_cndmask_b32_e64 v8, v8, v50, s[2:3]
	s_waitcnt vmcnt(10)
	v_accvgpr_read_b32 v75, a181
	v_accvgpr_read_b32 v59, a111
	;; [unrolled: 1-line block ×4, first 2 shown]
	v_mov_b64_e32 v[52:53], v[60:61]
	s_waitcnt vmcnt(4)
	v_mov_b32_e32 v73, v227
	scratch_load_dwordx4 v[214:217], off, off offset:2020 ; 16-byte Folded Reload
	scratch_load_dwordx4 v[218:221], off, off offset:2036 ; 16-byte Folded Reload
	;; [unrolled: 1-line block ×8, first 2 shown]
	v_accvgpr_read_b32 v60, a34
	v_cndmask_b32_e64 v9, v9, v53, s[4:5]
	v_cndmask_b32_e64 v8, v8, v52, s[4:5]
	v_accvgpr_read_b32 v61, a123
	v_cndmask_b32_e64 v9, v9, v75, s[6:7]
	v_cndmask_b32_e64 v9, v9, v73, s[8:9]
	s_waitcnt vmcnt(4)
	v_mov_b32_e32 v71, v229
	scratch_load_dwordx4 v[214:217], off, off offset:1764 ; 16-byte Folded Reload
	scratch_load_dwordx4 v[218:221], off, off offset:1780 ; 16-byte Folded Reload
	scratch_load_dwordx4 v[222:225], off, off offset:1796 ; 16-byte Folded Reload
	scratch_load_dwordx4 v[226:229], off, off offset:1812 ; 16-byte Folded Reload
	scratch_load_dwordx4 v[230:233], off, off offset:1828 ; 16-byte Folded Reload
	scratch_load_dwordx4 v[234:237], off, off offset:1844 ; 16-byte Folded Reload
	scratch_load_dwordx4 v[238:241], off, off offset:1860 ; 16-byte Folded Reload
	scratch_load_dwordx4 v[242:245], off, off offset:1876 ; 16-byte Folded Reload
	v_cndmask_b32_e64 v9, v9, v71, s[10:11]
	s_waitcnt vmcnt(5)
	v_mov_b32_e32 v70, v224
	scratch_load_dwordx4 v[214:217], off, off offset:1636 ; 16-byte Folded Reload
	scratch_load_dwordx4 v[218:221], off, off offset:1652 ; 16-byte Folded Reload
	scratch_load_dwordx4 v[222:225], off, off offset:1668 ; 16-byte Folded Reload
	scratch_load_dwordx4 v[226:229], off, off offset:1684 ; 16-byte Folded Reload
	scratch_load_dwordx4 v[230:233], off, off offset:1700 ; 16-byte Folded Reload
	scratch_load_dwordx4 v[234:237], off, off offset:1716 ; 16-byte Folded Reload
	scratch_load_dwordx4 v[238:241], off, off offset:1732 ; 16-byte Folded Reload
	scratch_load_dwordx4 v[242:245], off, off offset:1748 ; 16-byte Folded Reload
	;; [unrolled: 11-line block ×10, first 2 shown]
	v_cndmask_b32_e64 v11, v11, v62, s[6:7]
	v_cndmask_b32_e64 v11, v11, v40, s[8:9]
	v_cndmask_b32_e64 v12, v11, v212, s[10:11]
	s_waitcnt vmcnt(3)
	v_mov_b32_e32 v63, v231
	scratch_load_dwordx4 v[214:217], off, off offset:484 ; 16-byte Folded Reload
	scratch_load_dwordx4 v[218:221], off, off offset:500 ; 16-byte Folded Reload
	;; [unrolled: 1-line block ×8, first 2 shown]
	v_cndmask_b32_e64 v11, v10, v63, s[12:13]
	v_cndmask_b32_e64 v10, v12, v60, s[12:13]
	v_cndmask_b32_e32 v12, v185, v255, vcc
	v_cmp_eq_u32_e32 vcc, 1, v14
	v_cndmask_b32_e64 v12, v12, v181, s[0:1]
	v_cmp_eq_u32_e64 s[0:1], 2, v14
	v_cndmask_b32_e32 v16, v113, v111, vcc
	v_cndmask_b32_e32 v17, v112, v110, vcc
	v_cndmask_b32_e64 v12, v12, v127, s[2:3]
	v_cmp_eq_u32_e64 s[2:3], 3, v14
	v_cndmask_b32_e64 v16, v16, v109, s[0:1]
	v_cndmask_b32_e64 v17, v17, v108, s[0:1]
	v_cndmask_b32_e64 v12, v12, v85, s[4:5]
	v_cmp_eq_u32_e64 s[4:5], 4, v14
	v_cndmask_b32_e64 v16, v16, v51, s[2:3]
	v_cndmask_b32_e64 v17, v17, v50, s[2:3]
	;; [unrolled: 4-line block ×3, first 2 shown]
	v_cndmask_b32_e64 v12, v12, v59, s[8:9]
	v_cndmask_b32_e64 v16, v16, v75, s[6:7]
	;; [unrolled: 1-line block ×4, first 2 shown]
	s_waitcnt vmcnt(4)
	v_mov_b32_e32 v58, v226
	scratch_load_dwordx4 v[214:217], off, off offset:356 ; 16-byte Folded Reload
	scratch_load_dwordx4 v[218:221], off, off offset:372 ; 16-byte Folded Reload
	;; [unrolled: 1-line block ×8, first 2 shown]
	v_cndmask_b32_e64 v13, v13, v58, s[8:9]
	v_cmp_eq_u32_e64 s[8:9], 6, v14
	v_cndmask_b32_e64 v15, v13, v56, s[10:11]
	v_cmp_eq_u32_e64 s[10:11], 7, v14
	v_cndmask_b32_e64 v16, v16, v73, s[8:9]
	v_cndmask_b32_e64 v17, v17, v68, s[8:9]
	;; [unrolled: 1-line block ×4, first 2 shown]
	s_waitcnt vmcnt(3)
	v_mov_b32_e32 v55, v231
	scratch_load_dwordx4 v[214:217], off, off offset:612 ; 16-byte Folded Reload
	scratch_load_dwordx4 v[218:221], off, off offset:628 ; 16-byte Folded Reload
	;; [unrolled: 1-line block ×8, first 2 shown]
	v_cndmask_b32_e64 v13, v12, v55, s[12:13]
	s_waitcnt vmcnt(3)
	v_mov_b32_e32 v54, v230
	v_cndmask_b32_e64 v12, v15, v54, s[12:13]
	v_cndmask_b32_e32 v15, v179, v117, vcc
	v_cmp_eq_u32_e64 s[12:13], 8, v14
	v_cndmask_b32_e32 v14, v178, v116, vcc
	v_cndmask_b32_e64 v15, v15, v115, s[0:1]
	v_cndmask_b32_e64 v14, v14, v114, s[0:1]
	;; [unrolled: 1-line block ×4, first 2 shown]
	v_cndmask_b32_e32 v16, v185, v255, vcc
	v_cndmask_b32_e32 v17, v184, v254, vcc
	v_cndmask_b32_e64 v15, v15, v49, s[2:3]
	v_cndmask_b32_e64 v14, v14, v48, s[2:3]
	;; [unrolled: 1-line block ×26, first 2 shown]
	v_add_f64 v[28:29], v[14:15], -v[10:11]
	v_add_f64 v[26:27], v[22:23], -v[8:9]
	v_mul_f64 v[16:17], v[8:9], v[12:13]
	v_mul_f64 v[18:19], v[10:11], v[12:13]
	v_mul_f64 v[20:21], v[12:13], v[12:13]
.LBB2_124:                              ; =>This Inner Loop Header: Depth=1
	v_cmp_eq_u32_e32 vcc, 1, v31
	v_cmp_eq_u32_e64 s[0:1], 2, v31
	v_cmp_eq_u32_e64 s[2:3], 3, v31
	v_cndmask_b32_e32 v32, v113, v111, vcc
	v_cndmask_b32_e32 v33, v112, v110, vcc
	v_cndmask_b32_e64 v32, v32, v109, s[0:1]
	v_cndmask_b32_e64 v33, v33, v108, s[0:1]
	;; [unrolled: 1-line block ×3, first 2 shown]
	v_cmp_eq_u32_e64 s[4:5], 4, v31
	v_cndmask_b32_e64 v33, v33, v50, s[2:3]
	v_cmp_eq_u32_e64 s[6:7], 5, v31
	v_cndmask_b32_e64 v32, v32, v53, s[4:5]
	v_cndmask_b32_e64 v33, v33, v52, s[4:5]
	;; [unrolled: 1-line block ×3, first 2 shown]
	v_cmp_eq_u32_e64 s[8:9], 6, v31
	v_cndmask_b32_e64 v33, v33, v70, s[6:7]
	v_cmp_eq_u32_e64 s[10:11], 7, v31
	v_cndmask_b32_e64 v32, v32, v73, s[8:9]
	v_cndmask_b32_e64 v33, v33, v68, s[8:9]
	;; [unrolled: 1-line block ×3, first 2 shown]
	v_cmp_eq_u32_e64 s[12:13], 8, v31
	v_cndmask_b32_e64 v34, v33, v66, s[10:11]
	v_cndmask_b32_e32 v35, v178, v116, vcc
	v_cndmask_b32_e64 v33, v32, v41, s[12:13]
	v_cndmask_b32_e64 v32, v34, v64, s[12:13]
	v_cndmask_b32_e32 v34, v179, v117, vcc
	v_cndmask_b32_e64 v34, v34, v115, s[0:1]
	v_cndmask_b32_e64 v35, v35, v114, s[0:1]
	;; [unrolled: 1-line block ×14, first 2 shown]
	v_add_f64 v[36:37], v[32:33], -v[8:9]
	v_mul_f64 v[28:29], v[36:37], v[28:29]
	v_add_f64 v[38:39], v[34:35], -v[10:11]
	v_fma_f64 v[26:27], v[38:39], v[26:27], -v[28:29]
	v_cndmask_b32_e32 v28, v185, v255, vcc
	v_cndmask_b32_e32 v29, v184, v254, vcc
	v_cndmask_b32_e64 v28, v28, v181, s[0:1]
	v_cndmask_b32_e64 v29, v29, v180, s[0:1]
	;; [unrolled: 1-line block ×14, first 2 shown]
	v_fma_f64 v[44:45], v[24:25], v[24:25], v[20:21]
	v_fmac_f64_e32 v[44:45], v[42:43], v[42:43]
	v_fmac_f64_e32 v[44:45], v[12:13], v[24:25]
	;; [unrolled: 1-line block ×3, first 2 shown]
	v_add_f64 v[46:47], v[12:13], v[24:25]
	v_add_f64 v[28:29], v[8:9], v[22:23]
	v_fma_f64 v[22:23], v[22:23], v[24:25], v[16:17]
	v_fmac_f64_e32 v[44:45], v[42:43], v[24:25]
	v_fma_f64 v[24:25], v[14:15], v[24:25], v[18:19]
	v_add_f64 v[14:15], v[10:11], v[14:15]
	v_add_f64 v[46:47], v[42:43], v[46:47]
	;; [unrolled: 1-line block ×3, first 2 shown]
	v_fmac_f64_e32 v[6:7], v[46:47], v[26:27]
	v_mul_f64 v[46:47], v[46:47], v[26:27]
	v_mul_f64 v[14:15], v[14:15], v[46:47]
	v_fmac_f64_e32 v[24:25], v[34:35], v[42:43]
	v_fmac_f64_e32 v[14:15], v[24:25], v[26:27]
	v_add_f64 v[2:3], v[2:3], v[14:15]
	v_lshl_add_u32 v14, v31, 2, v30
	scratch_load_dword v31, v14, off
	v_add_f64 v[28:29], v[28:29], v[32:33]
	v_mul_f64 v[28:29], v[28:29], v[46:47]
	v_fmac_f64_e32 v[22:23], v[42:43], v[32:33]
	v_fmac_f64_e32 v[28:29], v[22:23], v[26:27]
	;; [unrolled: 1-line block ×3, first 2 shown]
	v_add_f64 v[0:1], v[0:1], v[28:29]
	v_mov_b64_e32 v[22:23], v[32:33]
	v_mov_b64_e32 v[14:15], v[34:35]
	;; [unrolled: 1-line block ×5, first 2 shown]
	s_waitcnt vmcnt(0)
	v_cmp_gt_i32_e32 vcc, 0, v31
	s_or_b64 s[18:19], vcc, s[18:19]
	s_andn2_b64 exec, exec, s[18:19]
	s_cbranch_execnz .LBB2_124
; %bb.125:
	s_or_b64 exec, exec, s[18:19]
.LBB2_126:
	s_or_b64 exec, exec, s[16:17]
.LBB2_127:
	s_or_b64 exec, exec, s[14:15]
	scratch_load_dwordx2 v[8:9], off, off offset:2556 ; 8-byte Folded Reload
	scratch_load_dwordx2 v[10:11], off, off offset:2484 ; 8-byte Folded Reload
	scratch_load_dwordx4 v[18:21], off, off offset:2452 ; 16-byte Folded Reload
	s_mov_b32 s1, 0x3fc55555
	s_mov_b32 s0, 0x55555555
	v_mul_f64 v[6:7], v[6:7], s[0:1]
	s_mov_b32 s1, 0x3fa55555
	v_mul_f64 v[0:1], v[0:1], s[0:1]
	v_mul_f64 v[2:3], v[2:3], s[0:1]
	;; [unrolled: 1-line block ×3, first 2 shown]
	scratch_load_dwordx2 v[12:13], off, off offset:2508 ; 8-byte Folded Reload
	s_waitcnt vmcnt(3)
	v_mul_f64 v[8:9], v[8:9], v[0:1]
	s_waitcnt vmcnt(2)
	v_fmac_f64_e32 v[8:9], v[10:11], v[6:7]
	scratch_load_dwordx2 v[10:11], off, off offset:2548 ; 8-byte Folded Reload
	s_waitcnt vmcnt(0)
	v_fmac_f64_e32 v[8:9], v[10:11], v[2:3]
	scratch_load_dwordx2 v[10:11], off, off offset:2500 ; 8-byte Folded Reload
	s_waitcnt vmcnt(0)
	v_fmac_f64_e32 v[8:9], v[10:11], v[4:5]
	v_mul_f64 v[8:9], v[12:13], v[8:9]
	v_add_f64 v[16:17], v[8:9], 0
	scratch_load_dwordx2 v[8:9], off, off offset:2540 ; 8-byte Folded Reload
	scratch_load_dwordx2 v[10:11], off, off offset:2532 ; 8-byte Folded Reload
	s_waitcnt vmcnt(1)
	v_mul_f64 v[8:9], v[8:9], v[0:1]
	v_fmac_f64_e32 v[8:9], v[20:21], v[6:7]
	s_waitcnt vmcnt(0)
	v_fmac_f64_e32 v[8:9], v[10:11], v[2:3]
	scratch_load_dwordx2 v[10:11], off, off offset:2492 ; 8-byte Folded Reload
	s_waitcnt vmcnt(0)
	v_fmac_f64_e32 v[8:9], v[10:11], v[4:5]
	v_mul_f64 v[8:9], v[12:13], v[8:9]
	v_add_f64 v[18:19], v[8:9], 0
	scratch_load_dwordx2 v[8:9], off, off offset:2524 ; 8-byte Folded Reload
	s_waitcnt vmcnt(0)
	v_mul_f64 v[0:1], v[8:9], v[0:1]
	scratch_load_dwordx4 v[8:11], off, off offset:2436 ; 16-byte Folded Reload
	scratch_load_dwordx2 v[8:9], off, off offset:2516 ; 8-byte Folded Reload
	s_waitcnt vmcnt(1)
	v_fmac_f64_e32 v[0:1], v[10:11], v[6:7]
	s_waitcnt vmcnt(0)
	v_fmac_f64_e32 v[0:1], v[8:9], v[2:3]
	scratch_load_dwordx2 v[2:3], off, off offset:2476 ; 8-byte Folded Reload
	scratch_load_dwordx2 v[34:35], off, off offset:2468 ; 8-byte Folded Reload
	;; [unrolled: 1-line block ×3, first 2 shown]
	s_waitcnt vmcnt(2)
	v_fmac_f64_e32 v[0:1], v[2:3], v[4:5]
	v_mul_f64 v[0:1], v[12:13], v[0:1]
	v_add_f64 v[20:21], v[0:1], 0
	v_mul_f64 v[0:1], v[12:13], v[6:7]
	v_add_f64 v[22:23], v[0:1], 0
.LBB2_128:
	s_or_b64 exec, exec, s[50:51]
	s_movk_i32 s2, 0x48
	s_waitcnt vmcnt(0)
	v_mad_u64_u32 v[0:1], s[0:1], v14, s2, 0
	v_mov_b32_e32 v2, v1
	v_mad_u64_u32 v[2:3], s[0:1], v15, s2, v[2:3]
	v_and_b32_e32 v34, 0xffffffc0, v34
	v_mov_b32_e32 v1, v2
	v_mov_b64_e32 v[2:3], 0
	v_cmp_gt_i64_e32 vcc, v[0:1], v[34:35]
	v_mov_b64_e32 v[0:1], v[22:23]
	v_mov_b64_e32 v[4:5], v[16:17]
	;; [unrolled: 1-line block ×7, first 2 shown]
	s_and_saveexec_b64 s[0:1], vcc
; %bb.129:
	v_mov_b64_e32 v[0:1], 0
	v_mov_b64_e32 v[4:5], v[0:1]
	;; [unrolled: 1-line block ×8, first 2 shown]
; %bb.130:
	s_or_b64 exec, exec, s[0:1]
	v_mbcnt_lo_u32_b32 v16, -1, 0
	v_mbcnt_hi_u32_b32 v16, -1, v16
	v_and_b32_e32 v17, 64, v16
	v_add_u32_e32 v17, 64, v17
	s_mov_b64 s[0:1], 1
	s_waitcnt lgkmcnt(0)
	; wave barrier
.LBB2_131:                              ; =>This Inner Loop Header: Depth=1
	v_xor_b32_e32 v18, s0, v16
	v_cmp_lt_i32_e32 vcc, v18, v17
	s_lshl_b64 s[2:3], s[0:1], 1
	v_cmp_gt_u64_e64 s[0:1], s[0:1], 31
	v_cndmask_b32_e32 v18, v16, v18, vcc
	v_lshlrev_b32_e32 v33, 2, v18
	ds_bpermute_b32 v18, v33, v14
	ds_bpermute_b32 v19, v33, v15
	ds_bpermute_b32 v20, v33, v12
	ds_bpermute_b32 v21, v33, v13
	ds_bpermute_b32 v22, v33, v10
	ds_bpermute_b32 v23, v33, v11
	ds_bpermute_b32 v24, v33, v2
	ds_bpermute_b32 v25, v33, v3
	ds_bpermute_b32 v26, v33, v0
	ds_bpermute_b32 v27, v33, v1
	ds_bpermute_b32 v28, v33, v4
	ds_bpermute_b32 v29, v33, v5
	ds_bpermute_b32 v30, v33, v6
	ds_bpermute_b32 v31, v33, v7
	ds_bpermute_b32 v32, v33, v8
	ds_bpermute_b32 v33, v33, v9
	s_and_b64 vcc, exec, s[0:1]
	s_mov_b64 s[0:1], s[2:3]
	s_waitcnt lgkmcnt(14)
	v_add_f64 v[14:15], v[14:15], v[18:19]
	s_waitcnt lgkmcnt(12)
	v_add_f64 v[12:13], v[12:13], v[20:21]
	;; [unrolled: 2-line block ×8, first 2 shown]
	s_cbranch_vccz .LBB2_131
; %bb.132:
	scratch_load_dwordx2 v[16:17], off, off offset:2276 ; 8-byte Folded Reload
	s_waitcnt vmcnt(0)
	v_mov_b32_e32 v17, 0
	v_and_b32_e32 v16, 63, v16
	v_cmp_eq_u64_e32 vcc, 0, v[16:17]
	s_and_saveexec_b64 s[0:1], vcc
	s_cbranch_execz .LBB2_134
; %bb.133:
	ds_write2_b64 v17, v[0:1], v[4:5] offset1:2
	ds_write2_b64 v17, v[6:7], v[8:9] offset0:4 offset1:6
	ds_write2_b64 v17, v[14:15], v[12:13] offset0:8 offset1:10
	;; [unrolled: 1-line block ×3, first 2 shown]
.LBB2_134:
	s_or_b64 exec, exec, s[0:1]
	v_cmp_gt_u64_e32 vcc, 8, v[16:17]
	s_waitcnt lgkmcnt(0)
	; wave barrier
	s_waitcnt lgkmcnt(0)
	s_and_b64 exec, exec, vcc
	s_cbranch_execz .LBB2_136
; %bb.135:
	v_lshlrev_b32_e32 v0, 4, v16
	ds_read_b64 v[0:1], v0
	v_lshl_add_u64 v[2:3], s[48:49], 0, v[34:35]
	v_lshlrev_b32_e32 v4, 3, v16
	v_mov_b32_e32 v5, 0
	v_lshl_add_u64 v[2:3], v[2:3], 0, v[4:5]
	s_waitcnt lgkmcnt(0)
	global_store_dwordx2 v[2:3], v[0:1], off
.LBB2_136:
	s_endpgm
	.section	.rodata,"a",@progbits
	.p2align	6, 0x0
	.amdhsa_kernel _ZN8rajaperf17lambda_hip_forallILm64EZNS_4apps12INTSC_HEXHEX17runHipVariantImplILm64EEEvNS_9VariantIDEEUllE_EEvllT0_
		.amdhsa_group_segment_fixed_size 128
		.amdhsa_private_segment_fixed_size 2704
		.amdhsa_kernarg_size 48
		.amdhsa_user_sgpr_count 2
		.amdhsa_user_sgpr_dispatch_ptr 0
		.amdhsa_user_sgpr_queue_ptr 0
		.amdhsa_user_sgpr_kernarg_segment_ptr 1
		.amdhsa_user_sgpr_dispatch_id 0
		.amdhsa_user_sgpr_kernarg_preload_length 0
		.amdhsa_user_sgpr_kernarg_preload_offset 0
		.amdhsa_user_sgpr_private_segment_size 0
		.amdhsa_uses_dynamic_stack 0
		.amdhsa_enable_private_segment 1
		.amdhsa_system_sgpr_workgroup_id_x 1
		.amdhsa_system_sgpr_workgroup_id_y 0
		.amdhsa_system_sgpr_workgroup_id_z 0
		.amdhsa_system_sgpr_workgroup_info 0
		.amdhsa_system_vgpr_workitem_id 0
		.amdhsa_next_free_vgpr 512
		.amdhsa_next_free_sgpr 54
		.amdhsa_accum_offset 256
		.amdhsa_reserve_vcc 1
		.amdhsa_float_round_mode_32 0
		.amdhsa_float_round_mode_16_64 0
		.amdhsa_float_denorm_mode_32 3
		.amdhsa_float_denorm_mode_16_64 3
		.amdhsa_dx10_clamp 1
		.amdhsa_ieee_mode 1
		.amdhsa_fp16_overflow 0
		.amdhsa_tg_split 0
		.amdhsa_exception_fp_ieee_invalid_op 0
		.amdhsa_exception_fp_denorm_src 0
		.amdhsa_exception_fp_ieee_div_zero 0
		.amdhsa_exception_fp_ieee_overflow 0
		.amdhsa_exception_fp_ieee_underflow 0
		.amdhsa_exception_fp_ieee_inexact 0
		.amdhsa_exception_int_div_zero 0
	.end_amdhsa_kernel
	.section	.text._ZN8rajaperf17lambda_hip_forallILm64EZNS_4apps12INTSC_HEXHEX17runHipVariantImplILm64EEEvNS_9VariantIDEEUllE_EEvllT0_,"axG",@progbits,_ZN8rajaperf17lambda_hip_forallILm64EZNS_4apps12INTSC_HEXHEX17runHipVariantImplILm64EEEvNS_9VariantIDEEUllE_EEvllT0_,comdat
.Lfunc_end2:
	.size	_ZN8rajaperf17lambda_hip_forallILm64EZNS_4apps12INTSC_HEXHEX17runHipVariantImplILm64EEEvNS_9VariantIDEEUllE_EEvllT0_, .Lfunc_end2-_ZN8rajaperf17lambda_hip_forallILm64EZNS_4apps12INTSC_HEXHEX17runHipVariantImplILm64EEEvNS_9VariantIDEEUllE_EEvllT0_
                                        ; -- End function
	.section	.AMDGPU.csdata,"",@progbits
; Kernel info:
; codeLenInByte = 58084
; NumSgprs: 60
; NumVgprs: 256
; NumAgprs: 256
; TotalNumVgprs: 512
; ScratchSize: 2704
; MemoryBound: 0
; FloatMode: 240
; IeeeMode: 1
; LDSByteSize: 128 bytes/workgroup (compile time only)
; SGPRBlocks: 7
; VGPRBlocks: 63
; NumSGPRsForWavesPerEU: 60
; NumVGPRsForWavesPerEU: 512
; AccumOffset: 256
; Occupancy: 1
; WaveLimiterHint : 0
; COMPUTE_PGM_RSRC2:SCRATCH_EN: 1
; COMPUTE_PGM_RSRC2:USER_SGPR: 2
; COMPUTE_PGM_RSRC2:TRAP_HANDLER: 0
; COMPUTE_PGM_RSRC2:TGID_X_EN: 1
; COMPUTE_PGM_RSRC2:TGID_Y_EN: 0
; COMPUTE_PGM_RSRC2:TGID_Z_EN: 0
; COMPUTE_PGM_RSRC2:TIDIG_COMP_CNT: 0
; COMPUTE_PGM_RSRC3_GFX90A:ACCUM_OFFSET: 63
; COMPUTE_PGM_RSRC3_GFX90A:TG_SPLIT: 0
	.section	.text._ZN8rajaperf17lambda_hip_forallILm64EZNS_4apps12INTSC_HEXHEX17runHipVariantImplILm64EEEvNS_9VariantIDEEUllE0_EEvllT0_,"axG",@progbits,_ZN8rajaperf17lambda_hip_forallILm64EZNS_4apps12INTSC_HEXHEX17runHipVariantImplILm64EEEvNS_9VariantIDEEUllE0_EEvllT0_,comdat
	.protected	_ZN8rajaperf17lambda_hip_forallILm64EZNS_4apps12INTSC_HEXHEX17runHipVariantImplILm64EEEvNS_9VariantIDEEUllE0_EEvllT0_ ; -- Begin function _ZN8rajaperf17lambda_hip_forallILm64EZNS_4apps12INTSC_HEXHEX17runHipVariantImplILm64EEEvNS_9VariantIDEEUllE0_EEvllT0_
	.globl	_ZN8rajaperf17lambda_hip_forallILm64EZNS_4apps12INTSC_HEXHEX17runHipVariantImplILm64EEEvNS_9VariantIDEEUllE0_EEvllT0_
	.p2align	8
	.type	_ZN8rajaperf17lambda_hip_forallILm64EZNS_4apps12INTSC_HEXHEX17runHipVariantImplILm64EEEvNS_9VariantIDEEUllE0_EEvllT0_,@function
_ZN8rajaperf17lambda_hip_forallILm64EZNS_4apps12INTSC_HEXHEX17runHipVariantImplILm64EEEvNS_9VariantIDEEUllE0_EEvllT0_: ; @_ZN8rajaperf17lambda_hip_forallILm64EZNS_4apps12INTSC_HEXHEX17runHipVariantImplILm64EEEvNS_9VariantIDEEUllE0_EEvllT0_
; %bb.0:
	s_load_dwordx4 s[4:7], s[0:1], 0x0
	s_mov_b32 s3, 0
	s_lshl_b64 s[2:3], s[2:3], 6
	v_mov_b32_e32 v1, 0
	s_waitcnt lgkmcnt(0)
	s_add_u32 s2, s2, s4
	s_addc_u32 s3, s3, s5
	v_lshl_add_u64 v[4:5], s[2:3], 0, v[0:1]
	v_cmp_gt_i64_e32 vcc, s[6:7], v[4:5]
	s_and_saveexec_b64 s[2:3], vcc
	s_cbranch_execz .LBB3_17
; %bb.1:
	s_load_dwordx4 s[4:7], s[0:1], 0x10
	s_load_dwordx2 s[2:3], s[0:1], 0x20
	v_lshlrev_b64 v[0:1], 8, v[4:5]
	s_waitcnt lgkmcnt(0)
	v_mov_b32_e32 v2, s6
	v_mov_b32_e32 v3, s7
	v_lshl_add_u64 v[0:1], s[4:5], 0, v[0:1]
	s_movk_i32 s4, 0x240
	v_mad_u64_u32 v[2:3], s[0:1], v4, s4, v[2:3]
	v_mov_b32_e32 v6, v3
	v_mad_u64_u32 v[6:7], s[0:1], v5, s4, v[6:7]
	v_lshlrev_b64 v[4:5], 3, v[4:5]
	v_mov_b32_e32 v3, v6
	v_cmp_gt_u64_e32 vcc, s[2:3], v[4:5]
	s_and_saveexec_b64 s[0:1], vcc
	s_cbranch_execz .LBB3_3
; %bb.2:
	global_load_dwordx2 v[6:7], v[2:3], off
	global_load_dwordx2 v[8:9], v[2:3], off offset:64
	s_waitcnt vmcnt(0)
	v_add_f64 v[6:7], v[6:7], v[8:9]
	global_store_dwordx2 v[0:1], v[6:7], off
	global_load_dwordx2 v[6:7], v[2:3], off offset:8
	s_nop 0
	global_load_dwordx2 v[8:9], v[2:3], off offset:72
	s_waitcnt vmcnt(0)
	v_add_f64 v[6:7], v[6:7], v[8:9]
	global_store_dwordx2 v[0:1], v[6:7], off offset:8
	global_load_dwordx2 v[6:7], v[2:3], off offset:16
	s_nop 0
	global_load_dwordx2 v[8:9], v[2:3], off offset:80
	s_waitcnt vmcnt(0)
	v_add_f64 v[6:7], v[6:7], v[8:9]
	global_store_dwordx2 v[0:1], v[6:7], off offset:16
	;; [unrolled: 6-line block ×3, first 2 shown]
.LBB3_3:
	s_or_b64 exec, exec, s[0:1]
	v_or_b32_e32 v6, 1, v4
	v_mov_b32_e32 v7, v5
	v_cmp_gt_u64_e32 vcc, s[2:3], v[6:7]
	s_and_saveexec_b64 s[0:1], vcc
	s_cbranch_execz .LBB3_5
; %bb.4:
	global_load_dwordx2 v[6:7], v[2:3], off offset:96
	global_load_dwordx2 v[8:9], v[2:3], off offset:128
	s_waitcnt vmcnt(0)
	v_add_f64 v[6:7], v[6:7], v[8:9]
	global_store_dwordx2 v[0:1], v[6:7], off offset:32
	global_load_dwordx2 v[6:7], v[2:3], off offset:104
	s_nop 0
	global_load_dwordx2 v[8:9], v[2:3], off offset:136
	s_waitcnt vmcnt(0)
	v_add_f64 v[6:7], v[6:7], v[8:9]
	global_store_dwordx2 v[0:1], v[6:7], off offset:40
	global_load_dwordx2 v[6:7], v[2:3], off offset:112
	s_nop 0
	global_load_dwordx2 v[8:9], v[2:3], off offset:144
	s_waitcnt vmcnt(0)
	v_add_f64 v[6:7], v[6:7], v[8:9]
	global_store_dwordx2 v[0:1], v[6:7], off offset:48
	global_load_dwordx2 v[6:7], v[2:3], off offset:120
	s_nop 0
	global_load_dwordx2 v[8:9], v[2:3], off offset:152
	s_waitcnt vmcnt(0)
	v_add_f64 v[6:7], v[6:7], v[8:9]
	global_store_dwordx2 v[0:1], v[6:7], off offset:56
.LBB3_5:
	s_or_b64 exec, exec, s[0:1]
	v_or_b32_e32 v6, 2, v4
	v_mov_b32_e32 v7, v5
	v_cmp_gt_u64_e32 vcc, s[2:3], v[6:7]
	s_and_saveexec_b64 s[0:1], vcc
	s_cbranch_execz .LBB3_7
; %bb.6:
	global_load_dwordx2 v[6:7], v[2:3], off offset:160
	global_load_dwordx2 v[8:9], v[2:3], off offset:192
	s_waitcnt vmcnt(0)
	v_add_f64 v[6:7], v[6:7], v[8:9]
	global_store_dwordx2 v[0:1], v[6:7], off offset:64
	global_load_dwordx2 v[6:7], v[2:3], off offset:168
	s_nop 0
	global_load_dwordx2 v[8:9], v[2:3], off offset:200
	s_waitcnt vmcnt(0)
	v_add_f64 v[6:7], v[6:7], v[8:9]
	global_store_dwordx2 v[0:1], v[6:7], off offset:72
	global_load_dwordx2 v[6:7], v[2:3], off offset:176
	s_nop 0
	global_load_dwordx2 v[8:9], v[2:3], off offset:208
	s_waitcnt vmcnt(0)
	v_add_f64 v[6:7], v[6:7], v[8:9]
	global_store_dwordx2 v[0:1], v[6:7], off offset:80
	global_load_dwordx2 v[6:7], v[2:3], off offset:184
	s_nop 0
	global_load_dwordx2 v[8:9], v[2:3], off offset:216
	s_waitcnt vmcnt(0)
	v_add_f64 v[6:7], v[6:7], v[8:9]
	global_store_dwordx2 v[0:1], v[6:7], off offset:88
.LBB3_7:
	;; [unrolled: 31-line block ×6, first 2 shown]
	s_or_b64 exec, exec, s[0:1]
	v_or_b32_e32 v4, 7, v4
	v_cmp_gt_u64_e32 vcc, s[2:3], v[4:5]
	s_and_b64 exec, exec, vcc
	s_cbranch_execz .LBB3_17
; %bb.16:
	global_load_dwordx2 v[4:5], v[2:3], off offset:480
	global_load_dwordx2 v[6:7], v[2:3], off offset:512
	s_waitcnt vmcnt(0)
	v_add_f64 v[4:5], v[4:5], v[6:7]
	global_store_dwordx2 v[0:1], v[4:5], off offset:224
	global_load_dwordx2 v[4:5], v[2:3], off offset:488
	s_nop 0
	global_load_dwordx2 v[6:7], v[2:3], off offset:520
	s_waitcnt vmcnt(0)
	v_add_f64 v[4:5], v[4:5], v[6:7]
	global_store_dwordx2 v[0:1], v[4:5], off offset:232
	global_load_dwordx2 v[4:5], v[2:3], off offset:496
	s_nop 0
	;; [unrolled: 6-line block ×3, first 2 shown]
	global_load_dwordx2 v[6:7], v[2:3], off offset:536
	s_waitcnt vmcnt(0)
	v_add_f64 v[2:3], v[4:5], v[6:7]
	global_store_dwordx2 v[0:1], v[2:3], off offset:248
.LBB3_17:
	s_endpgm
	.section	.rodata,"a",@progbits
	.p2align	6, 0x0
	.amdhsa_kernel _ZN8rajaperf17lambda_hip_forallILm64EZNS_4apps12INTSC_HEXHEX17runHipVariantImplILm64EEEvNS_9VariantIDEEUllE0_EEvllT0_
		.amdhsa_group_segment_fixed_size 0
		.amdhsa_private_segment_fixed_size 0
		.amdhsa_kernarg_size 40
		.amdhsa_user_sgpr_count 2
		.amdhsa_user_sgpr_dispatch_ptr 0
		.amdhsa_user_sgpr_queue_ptr 0
		.amdhsa_user_sgpr_kernarg_segment_ptr 1
		.amdhsa_user_sgpr_dispatch_id 0
		.amdhsa_user_sgpr_kernarg_preload_length 0
		.amdhsa_user_sgpr_kernarg_preload_offset 0
		.amdhsa_user_sgpr_private_segment_size 0
		.amdhsa_uses_dynamic_stack 0
		.amdhsa_enable_private_segment 0
		.amdhsa_system_sgpr_workgroup_id_x 1
		.amdhsa_system_sgpr_workgroup_id_y 0
		.amdhsa_system_sgpr_workgroup_id_z 0
		.amdhsa_system_sgpr_workgroup_info 0
		.amdhsa_system_vgpr_workitem_id 0
		.amdhsa_next_free_vgpr 10
		.amdhsa_next_free_sgpr 8
		.amdhsa_accum_offset 12
		.amdhsa_reserve_vcc 1
		.amdhsa_float_round_mode_32 0
		.amdhsa_float_round_mode_16_64 0
		.amdhsa_float_denorm_mode_32 3
		.amdhsa_float_denorm_mode_16_64 3
		.amdhsa_dx10_clamp 1
		.amdhsa_ieee_mode 1
		.amdhsa_fp16_overflow 0
		.amdhsa_tg_split 0
		.amdhsa_exception_fp_ieee_invalid_op 0
		.amdhsa_exception_fp_denorm_src 0
		.amdhsa_exception_fp_ieee_div_zero 0
		.amdhsa_exception_fp_ieee_overflow 0
		.amdhsa_exception_fp_ieee_underflow 0
		.amdhsa_exception_fp_ieee_inexact 0
		.amdhsa_exception_int_div_zero 0
	.end_amdhsa_kernel
	.section	.text._ZN8rajaperf17lambda_hip_forallILm64EZNS_4apps12INTSC_HEXHEX17runHipVariantImplILm64EEEvNS_9VariantIDEEUllE0_EEvllT0_,"axG",@progbits,_ZN8rajaperf17lambda_hip_forallILm64EZNS_4apps12INTSC_HEXHEX17runHipVariantImplILm64EEEvNS_9VariantIDEEUllE0_EEvllT0_,comdat
.Lfunc_end3:
	.size	_ZN8rajaperf17lambda_hip_forallILm64EZNS_4apps12INTSC_HEXHEX17runHipVariantImplILm64EEEvNS_9VariantIDEEUllE0_EEvllT0_, .Lfunc_end3-_ZN8rajaperf17lambda_hip_forallILm64EZNS_4apps12INTSC_HEXHEX17runHipVariantImplILm64EEEvNS_9VariantIDEEUllE0_EEvllT0_
                                        ; -- End function
	.section	.AMDGPU.csdata,"",@progbits
; Kernel info:
; codeLenInByte = 1560
; NumSgprs: 14
; NumVgprs: 10
; NumAgprs: 0
; TotalNumVgprs: 10
; ScratchSize: 0
; MemoryBound: 1
; FloatMode: 240
; IeeeMode: 1
; LDSByteSize: 0 bytes/workgroup (compile time only)
; SGPRBlocks: 1
; VGPRBlocks: 1
; NumSGPRsForWavesPerEU: 14
; NumVGPRsForWavesPerEU: 10
; AccumOffset: 12
; Occupancy: 8
; WaveLimiterHint : 1
; COMPUTE_PGM_RSRC2:SCRATCH_EN: 0
; COMPUTE_PGM_RSRC2:USER_SGPR: 2
; COMPUTE_PGM_RSRC2:TRAP_HANDLER: 0
; COMPUTE_PGM_RSRC2:TGID_X_EN: 1
; COMPUTE_PGM_RSRC2:TGID_Y_EN: 0
; COMPUTE_PGM_RSRC2:TGID_Z_EN: 0
; COMPUTE_PGM_RSRC2:TIDIG_COMP_CNT: 0
; COMPUTE_PGM_RSRC3_GFX90A:ACCUM_OFFSET: 2
; COMPUTE_PGM_RSRC3_GFX90A:TG_SPLIT: 0
	.section	.text._ZN4RAJA6policy3hip4impl18forallp_hip_kernelINS1_8hip_execINS_17iteration_mapping6DirectENS_3hip11IndexGlobalILNS_9named_dimE0ELi64ELi0EEENS7_40AvoidDeviceMaxThreadOccupancyConcretizerINS7_34FractionOffsetOccupancyConcretizerINS_8FractionImLm1ELm1EEELln1EEEEELb1EEENS_9Iterators16numeric_iteratorIllPlEEZN8rajaperf4apps12INTSC_HEXHEX17runHipVariantImplILm64EEEvNSM_9VariantIDEEUllE1_lNS_4expt15ForallParamPackIJEEES6_SA_TnNSt9enable_ifIXaasr3std10is_base_ofINS5_10DirectBaseET4_EE5valuegtsrT5_10block_sizeLi0EEmE4typeELm64EEEvT1_T0_T2_T3_,"axG",@progbits,_ZN4RAJA6policy3hip4impl18forallp_hip_kernelINS1_8hip_execINS_17iteration_mapping6DirectENS_3hip11IndexGlobalILNS_9named_dimE0ELi64ELi0EEENS7_40AvoidDeviceMaxThreadOccupancyConcretizerINS7_34FractionOffsetOccupancyConcretizerINS_8FractionImLm1ELm1EEELln1EEEEELb1EEENS_9Iterators16numeric_iteratorIllPlEEZN8rajaperf4apps12INTSC_HEXHEX17runHipVariantImplILm64EEEvNSM_9VariantIDEEUllE1_lNS_4expt15ForallParamPackIJEEES6_SA_TnNSt9enable_ifIXaasr3std10is_base_ofINS5_10DirectBaseET4_EE5valuegtsrT5_10block_sizeLi0EEmE4typeELm64EEEvT1_T0_T2_T3_,comdat
	.protected	_ZN4RAJA6policy3hip4impl18forallp_hip_kernelINS1_8hip_execINS_17iteration_mapping6DirectENS_3hip11IndexGlobalILNS_9named_dimE0ELi64ELi0EEENS7_40AvoidDeviceMaxThreadOccupancyConcretizerINS7_34FractionOffsetOccupancyConcretizerINS_8FractionImLm1ELm1EEELln1EEEEELb1EEENS_9Iterators16numeric_iteratorIllPlEEZN8rajaperf4apps12INTSC_HEXHEX17runHipVariantImplILm64EEEvNSM_9VariantIDEEUllE1_lNS_4expt15ForallParamPackIJEEES6_SA_TnNSt9enable_ifIXaasr3std10is_base_ofINS5_10DirectBaseET4_EE5valuegtsrT5_10block_sizeLi0EEmE4typeELm64EEEvT1_T0_T2_T3_ ; -- Begin function _ZN4RAJA6policy3hip4impl18forallp_hip_kernelINS1_8hip_execINS_17iteration_mapping6DirectENS_3hip11IndexGlobalILNS_9named_dimE0ELi64ELi0EEENS7_40AvoidDeviceMaxThreadOccupancyConcretizerINS7_34FractionOffsetOccupancyConcretizerINS_8FractionImLm1ELm1EEELln1EEEEELb1EEENS_9Iterators16numeric_iteratorIllPlEEZN8rajaperf4apps12INTSC_HEXHEX17runHipVariantImplILm64EEEvNSM_9VariantIDEEUllE1_lNS_4expt15ForallParamPackIJEEES6_SA_TnNSt9enable_ifIXaasr3std10is_base_ofINS5_10DirectBaseET4_EE5valuegtsrT5_10block_sizeLi0EEmE4typeELm64EEEvT1_T0_T2_T3_
	.globl	_ZN4RAJA6policy3hip4impl18forallp_hip_kernelINS1_8hip_execINS_17iteration_mapping6DirectENS_3hip11IndexGlobalILNS_9named_dimE0ELi64ELi0EEENS7_40AvoidDeviceMaxThreadOccupancyConcretizerINS7_34FractionOffsetOccupancyConcretizerINS_8FractionImLm1ELm1EEELln1EEEEELb1EEENS_9Iterators16numeric_iteratorIllPlEEZN8rajaperf4apps12INTSC_HEXHEX17runHipVariantImplILm64EEEvNSM_9VariantIDEEUllE1_lNS_4expt15ForallParamPackIJEEES6_SA_TnNSt9enable_ifIXaasr3std10is_base_ofINS5_10DirectBaseET4_EE5valuegtsrT5_10block_sizeLi0EEmE4typeELm64EEEvT1_T0_T2_T3_
	.p2align	8
	.type	_ZN4RAJA6policy3hip4impl18forallp_hip_kernelINS1_8hip_execINS_17iteration_mapping6DirectENS_3hip11IndexGlobalILNS_9named_dimE0ELi64ELi0EEENS7_40AvoidDeviceMaxThreadOccupancyConcretizerINS7_34FractionOffsetOccupancyConcretizerINS_8FractionImLm1ELm1EEELln1EEEEELb1EEENS_9Iterators16numeric_iteratorIllPlEEZN8rajaperf4apps12INTSC_HEXHEX17runHipVariantImplILm64EEEvNSM_9VariantIDEEUllE1_lNS_4expt15ForallParamPackIJEEES6_SA_TnNSt9enable_ifIXaasr3std10is_base_ofINS5_10DirectBaseET4_EE5valuegtsrT5_10block_sizeLi0EEmE4typeELm64EEEvT1_T0_T2_T3_,@function
_ZN4RAJA6policy3hip4impl18forallp_hip_kernelINS1_8hip_execINS_17iteration_mapping6DirectENS_3hip11IndexGlobalILNS_9named_dimE0ELi64ELi0EEENS7_40AvoidDeviceMaxThreadOccupancyConcretizerINS7_34FractionOffsetOccupancyConcretizerINS_8FractionImLm1ELm1EEELln1EEEEELb1EEENS_9Iterators16numeric_iteratorIllPlEEZN8rajaperf4apps12INTSC_HEXHEX17runHipVariantImplILm64EEEvNSM_9VariantIDEEUllE1_lNS_4expt15ForallParamPackIJEEES6_SA_TnNSt9enable_ifIXaasr3std10is_base_ofINS5_10DirectBaseET4_EE5valuegtsrT5_10block_sizeLi0EEmE4typeELm64EEEvT1_T0_T2_T3_: ; @_ZN4RAJA6policy3hip4impl18forallp_hip_kernelINS1_8hip_execINS_17iteration_mapping6DirectENS_3hip11IndexGlobalILNS_9named_dimE0ELi64ELi0EEENS7_40AvoidDeviceMaxThreadOccupancyConcretizerINS7_34FractionOffsetOccupancyConcretizerINS_8FractionImLm1ELm1EEELln1EEEEELb1EEENS_9Iterators16numeric_iteratorIllPlEEZN8rajaperf4apps12INTSC_HEXHEX17runHipVariantImplILm64EEEvNSM_9VariantIDEEUllE1_lNS_4expt15ForallParamPackIJEEES6_SA_TnNSt9enable_ifIXaasr3std10is_base_ofINS5_10DirectBaseET4_EE5valuegtsrT5_10block_sizeLi0EEmE4typeELm64EEEvT1_T0_T2_T3_
; %bb.0:
	s_load_dwordx8 s[4:11], s[0:1], 0x10
	s_mov_b32 s3, 0
	s_lshl_b64 s[2:3], s[2:3], 6
	v_or_b32_e32 v0, s2, v0
	v_mov_b32_e32 v1, s3
	s_waitcnt lgkmcnt(0)
	v_cmp_gt_i64_e32 vcc, s[10:11], v[0:1]
	s_and_saveexec_b64 s[2:3], vcc
	s_cbranch_execz .LBB4_136
; %bb.1:
	s_load_dwordx4 s[48:51], s[0:1], 0x0
	s_add_u32 s0, 0, 0x8e389f80
	s_addc_u32 s1, 0, 15
	s_add_i32 s1, s1, 0x38e38d4
	v_lshl_add_u64 v[36:37], v[0:1], 0, s[8:9]
	s_mul_hi_u32 s9, s0, 0xffffffb8
	s_mul_i32 s10, s1, 0xffffffb8
	s_add_i32 s9, s9, s10
	s_mul_i32 s2, s0, 0xffffffb8
	s_sub_i32 s9, s9, s0
	s_mul_hi_u32 s3, s1, s2
	s_mul_i32 s8, s1, s2
	s_mul_i32 s11, s0, s9
	s_mul_hi_u32 s2, s0, s2
	s_mul_hi_u32 s10, s0, s9
	s_add_u32 s2, s2, s11
	s_addc_u32 s10, 0, s10
	s_add_u32 s2, s2, s8
	s_mul_hi_u32 s11, s1, s9
	s_addc_u32 s2, s10, s3
	s_addc_u32 s3, s11, 0
	s_mul_i32 s8, s1, s9
	s_add_u32 s2, s2, s8
	v_mov_b32_e32 v0, s2
	v_ashrrev_i32_e32 v4, 31, v37
	s_addc_u32 s3, 0, s3
	v_add_co_u32_e32 v10, vcc, s0, v0
	v_mov_b32_e32 v5, v4
	s_cmp_lg_u64 vcc, 0
	v_lshl_add_u64 v[0:1], v[36:37], 0, v[4:5]
	s_addc_u32 s2, s1, s3
	v_xor_b32_e32 v3, v0, v4
	v_xor_b32_e32 v2, v1, v4
	v_mad_u64_u32 v[6:7], s[0:1], v3, s2, 0
	v_mul_hi_u32 v0, v3, v10
	v_mov_b32_e32 v1, 0
	v_lshl_add_u64 v[6:7], v[0:1], 0, v[6:7]
	v_mad_u64_u32 v[10:11], s[0:1], v2, v10, 0
	v_add_co_u32_e32 v0, vcc, v6, v10
	v_mad_u64_u32 v[8:9], s[0:1], v2, s2, 0
	s_nop 0
	v_addc_co_u32_e32 v0, vcc, v7, v11, vcc
	s_movk_i32 s2, 0x48
	s_nop 0
	v_addc_co_u32_e32 v9, vcc, 0, v9, vcc
	v_lshl_add_u64 v[6:7], v[0:1], 0, v[8:9]
	v_mad_u64_u32 v[8:9], s[0:1], v6, s2, 0
	v_mov_b32_e32 v0, v9
	v_mad_u64_u32 v[10:11], s[0:1], v7, s2, v[0:1]
	v_sub_co_u32_e32 v0, vcc, v3, v8
	s_movk_i32 s0, 0x47
	s_nop 0
	v_subb_co_u32_e32 v5, vcc, v2, v10, vcc
	v_subrev_co_u32_e32 v8, vcc, 0x48, v0
	v_lshl_add_u64 v[10:11], v[6:7], 0, 1
	s_nop 0
	v_subbrev_co_u32_e32 v9, vcc, 0, v5, vcc
	v_cmp_lt_u32_e32 vcc, s0, v8
	v_cmp_lt_u32_e64 s[0:1], s0, v0
	v_mov_b64_e32 v[22:23], 0
	v_cndmask_b32_e64 v8, 0, -1, vcc
	v_cmp_eq_u32_e32 vcc, 0, v9
	v_cndmask_b32_e64 v0, 0, -1, s[0:1]
	v_cmp_eq_u32_e64 s[0:1], 0, v5
	v_cndmask_b32_e32 v12, -1, v8, vcc
	v_lshl_add_u64 v[8:9], v[6:7], 0, 2
	v_cmp_ne_u32_e32 vcc, 0, v12
	v_cndmask_b32_e64 v0, -1, v0, s[0:1]
	v_cmp_ne_u32_e64 s[0:1], 0, v0
	v_cndmask_b32_e32 v5, v10, v8, vcc
	v_cndmask_b32_e32 v9, v11, v9, vcc
	v_cndmask_b32_e64 v5, v6, v5, s[0:1]
	v_cndmask_b32_e64 v0, v7, v9, s[0:1]
	v_xor_b32_e32 v5, v5, v4
	v_xor_b32_e32 v0, v0, v4
	v_sub_co_u32_e32 v14, vcc, v5, v4
	v_mov_b64_e32 v[20:21], v[22:23]
	s_nop 0
	v_subb_co_u32_e32 v15, vcc, v0, v4, vcc
	s_waitcnt lgkmcnt(0)
	v_cmp_gt_u64_e32 vcc, s[50:51], v[14:15]
	v_mov_b64_e32 v[18:19], v[22:23]
	v_mov_b64_e32 v[24:25], v[22:23]
	s_and_saveexec_b64 s[50:51], vcc
	s_cbranch_execz .LBB4_128
; %bb.2:
	s_mov_b32 s2, 0xaaaaaaaa
	s_mov_b32 s3, 0x2aaaaaaa
	v_mad_u64_u32 v[8:9], s[0:1], v3, s3, 0
	v_mul_hi_u32 v0, v3, s2
	v_mad_u64_u32 v[6:7], s[0:1], v2, s2, 0
	v_lshl_add_u64 v[8:9], v[0:1], 0, v[8:9]
	v_add_co_u32_e32 v0, vcc, v8, v6
	v_mad_u64_u32 v[10:11], s[0:1], v2, s3, 0
	s_nop 0
	v_addc_co_u32_e32 v0, vcc, v9, v7, vcc
	s_nop 1
	v_addc_co_u32_e32 v11, vcc, 0, v11, vcc
	v_lshl_add_u64 v[6:7], v[0:1], 0, v[10:11]
	v_mad_u64_u32 v[8:9], s[0:1], v6, 6, 0
	v_mov_b32_e32 v0, v9
	v_mad_u64_u32 v[10:11], s[0:1], v7, 6, v[0:1]
	v_sub_co_u32_e32 v0, vcc, v3, v8
	v_cmp_lt_u32_e64 s[0:1], 5, v0
	s_nop 0
	v_subb_co_u32_e32 v5, vcc, v2, v10, vcc
	v_subrev_co_u32_e32 v2, vcc, 6, v0
	v_cndmask_b32_e64 v0, 0, -1, s[0:1]
	s_nop 0
	v_subbrev_co_u32_e32 v3, vcc, 0, v5, vcc
	v_cmp_lt_u32_e32 vcc, 5, v2
	v_cmp_eq_u32_e64 s[0:1], 0, v5
	v_lshl_add_u64 v[8:9], v[6:7], 0, 1
	v_cndmask_b32_e64 v2, 0, -1, vcc
	v_cmp_eq_u32_e32 vcc, 0, v3
	v_cndmask_b32_e64 v0, -1, v0, s[0:1]
	v_cmp_ne_u32_e64 s[0:1], 0, v0
	v_cndmask_b32_e32 v10, -1, v2, vcc
	v_lshl_add_u64 v[2:3], v[6:7], 0, 2
	v_cmp_ne_u32_e32 vcc, 0, v10
	s_nop 1
	v_cndmask_b32_e32 v3, v9, v3, vcc
	v_cndmask_b32_e32 v2, v8, v2, vcc
	v_cndmask_b32_e64 v0, v7, v3, s[0:1]
	v_cndmask_b32_e64 v2, v6, v2, s[0:1]
	s_add_u32 s0, 0, 0x55540000
	s_addc_u32 s1, 0, 0x55
	s_or_b32 s3, s1, 0x15555500
	s_mul_hi_u32 s9, s0, -12
	s_mul_i32 s10, s3, -12
	s_add_i32 s9, s9, s10
	s_mul_i32 s2, s0, -12
	s_sub_i32 s9, s9, s0
	s_mul_hi_u32 s1, s3, s2
	s_mul_i32 s8, s3, s2
	s_mul_i32 s11, s0, s9
	s_mul_hi_u32 s2, s0, s2
	s_mul_hi_u32 s10, s0, s9
	s_add_u32 s2, s2, s11
	s_addc_u32 s10, 0, s10
	s_add_u32 s2, s2, s8
	v_xor_b32_e32 v2, v2, v4
	s_mul_hi_u32 s11, s3, s9
	s_addc_u32 s1, s10, s1
	v_xor_b32_e32 v0, v0, v4
	v_sub_co_u32_e32 v2, vcc, v2, v4
	s_addc_u32 s2, s11, 0
	s_mul_i32 s8, s3, s9
	v_subb_co_u32_e32 v3, vcc, v0, v4, vcc
	s_add_u32 s1, s1, s8
	v_ashrrev_i32_e32 v4, 31, v3
	v_mov_b32_e32 v0, s1
	v_mov_b32_e32 v5, v4
	s_addc_u32 s2, 0, s2
	v_add_co_u32_e32 v0, vcc, s0, v0
	v_lshl_add_u64 v[6:7], v[2:3], 0, v[4:5]
	s_cmp_lg_u64 vcc, 0
	v_xor_b32_e32 v5, v7, v4
	v_xor_b32_e32 v12, v6, v4
	s_addc_u32 s2, s3, s2
	v_mad_u64_u32 v[6:7], s[0:1], v5, v0, 0
	v_mad_u64_u32 v[8:9], s[0:1], v12, s2, 0
	v_mul_hi_u32 v0, v12, v0
	v_lshl_add_u64 v[8:9], v[0:1], 0, v[8:9]
	v_add_co_u32_e32 v0, vcc, v8, v6
	v_mad_u64_u32 v[10:11], s[0:1], v5, s2, 0
	s_nop 0
	v_addc_co_u32_e32 v0, vcc, v9, v7, vcc
	s_nop 1
	v_addc_co_u32_e32 v11, vcc, 0, v11, vcc
	v_lshl_add_u64 v[0:1], v[0:1], 0, v[10:11]
	v_mad_u64_u32 v[6:7], s[0:1], v0, 12, 0
	v_mov_b32_e32 v0, v7
	v_mad_u64_u32 v[0:1], s[0:1], v1, 12, v[0:1]
	v_sub_co_u32_e32 v1, vcc, v12, v6
	v_cmp_lt_u32_e64 s[0:1], 11, v1
	s_nop 0
	v_subb_co_u32_e32 v0, vcc, v5, v0, vcc
	v_subrev_co_u32_e32 v5, vcc, 12, v1
	s_nop 1
	v_subbrev_co_u32_e32 v6, vcc, 0, v0, vcc
	v_subrev_co_u32_e32 v7, vcc, 12, v5
	s_nop 1
	v_subbrev_co_u32_e32 v8, vcc, 0, v6, vcc
	v_cmp_lt_u32_e32 vcc, 11, v5
	s_nop 1
	v_cndmask_b32_e64 v9, 0, -1, vcc
	v_cmp_eq_u32_e32 vcc, 0, v6
	s_nop 1
	v_cndmask_b32_e32 v9, -1, v9, vcc
	v_cmp_ne_u32_e32 vcc, 0, v9
	s_nop 1
	v_cndmask_b32_e32 v6, v6, v8, vcc
	v_cndmask_b32_e64 v8, 0, -1, s[0:1]
	v_cmp_eq_u32_e64 s[0:1], 0, v0
	v_cndmask_b32_e32 v5, v5, v7, vcc
	s_nop 0
	v_cndmask_b32_e64 v8, -1, v8, s[0:1]
	v_cmp_ne_u32_e64 s[0:1], 0, v8
	s_nop 1
	v_cndmask_b32_e64 v1, v1, v5, s[0:1]
	v_cndmask_b32_e64 v0, v0, v6, s[0:1]
	v_xor_b32_e32 v1, v1, v4
	v_xor_b32_e32 v0, v0, v4
	v_sub_co_u32_e32 v8, vcc, v1, v4
                                        ; implicit-def: $sgpr0_sgpr1
                                        ; implicit-def: $vgpr6_vgpr7
	s_nop 1
	v_subb_co_u32_e32 v9, vcc, v0, v4, vcc
	v_cmp_lt_i64_e32 vcc, 5, v[8:9]
                                        ; implicit-def: $vgpr4_vgpr5
	s_and_saveexec_b64 s[2:3], vcc
	s_xor_b64 s[2:3], exec, s[2:3]
; %bb.3:
	v_sub_co_u32_e32 v4, vcc, 12, v8
	s_mov_b64 s[0:1], 7
	s_nop 0
	v_subb_co_u32_e32 v5, vcc, 0, v9, vcc
	v_sub_co_u32_e32 v6, vcc, 11, v8
	s_nop 1
	v_subb_co_u32_e32 v7, vcc, 0, v9, vcc
                                        ; implicit-def: $vgpr8_vgpr9
; %bb.4:
	s_or_saveexec_b64 s[2:3], s[2:3]
	v_mov_b64_e32 v[0:1], s[0:1]
	s_xor_b64 exec, exec, s[2:3]
; %bb.5:
	v_lshl_add_u64 v[6:7], v[8:9], 0, 1
	v_mov_b64_e32 v[0:1], 0
	v_mov_b64_e32 v[4:5], v[8:9]
; %bb.6:
	s_or_b64 exec, exec, s[2:3]
	v_mad_u64_u32 v[8:9], s[0:1], v2, 6, 0
	v_mov_b32_e32 v2, v9
	s_getpc_b64 s[0:1]
	s_add_u32 s0, s0, __const._ZN8rajaperf14hex_intsc_subzEPKdS1_iiRdS2_S2_S2_.cyc_nod@rel32@lo+4
	s_addc_u32 s1, s1, __const._ZN8rajaperf14hex_intsc_subzEPKdS1_iiRdS2_S2_S2_.cyc_nod@rel32@hi+12
	v_lshl_add_u64 v[4:5], v[4:5], 2, s[0:1]
	v_lshl_add_u64 v[6:7], v[6:7], 2, s[0:1]
	v_mad_u64_u32 v[2:3], s[0:1], v3, 6, v[2:3]
	v_mov_b32_e32 v3, v2
	v_sub_co_u32_e32 v2, vcc, v36, v8
	v_accvgpr_write_b32 a248, v37           ;  Reload Reuse
	s_nop 0
	v_subb_co_u32_e32 v3, vcc, v37, v3, vcc
	s_getpc_b64 s[0:1]
	s_add_u32 s0, s0, __const._ZN8rajaperf14hex_intsc_subzEPKdS1_iiRdS2_S2_S2_.vert_cyc@rel32@lo+4
	s_addc_u32 s1, s1, __const._ZN8rajaperf14hex_intsc_subzEPKdS1_iiRdS2_S2_S2_.vert_cyc@rel32@hi+12
	global_load_dword v10, v[4:5], off
	global_load_dword v12, v[6:7], off
	v_lshl_add_u64 v[4:5], v[2:3], 2, s[0:1]
	v_mov_b32_e32 v3, 43
	v_add_u16_e32 v2, 1, v2
	v_mul_lo_u16_sdwa v3, sext(v2), v3 dst_sel:DWORD dst_unused:UNUSED_PAD src0_sel:BYTE_0 src1_sel:DWORD
	global_load_dword v4, v[4:5], off
	v_lshrrev_b16_e32 v5, 15, v3
	v_add_u16_sdwa v3, v3, v5 dst_sel:DWORD dst_unused:UNUSED_PAD src0_sel:BYTE_1 src1_sel:DWORD
	v_mul_lo_u16_e32 v3, 6, v3
	v_sub_u16_e32 v2, v2, v3
	v_bfe_i32 v2, v2, 0, 8
	v_ashrrev_i32_e32 v3, 31, v2
	v_lshl_add_u64 v[2:3], v[2:3], 2, s[0:1]
	global_load_dword v2, v[2:3], off
	v_mov_b32_e32 v6, s6
	v_mov_b32_e32 v7, s7
	s_movk_i32 s2, 0xc0
	v_mov_b32_e32 v8, s4
	v_mov_b32_e32 v9, s5
	v_mul_lo_u32 v3, v15, s2
	v_mad_u64_u32 v[6:7], s[0:1], v14, s2, v[6:7]
	v_accvgpr_write_b32 a250, v15           ;  Reload Reuse
	v_mad_u64_u32 v[8:9], s[0:1], v14, s2, v[8:9]
	v_add_u32_e32 v9, v3, v9
	v_add_u32_e32 v7, v3, v7
	v_lshl_add_u64 v[0:1], v[0:1], 3, v[8:9]
	v_accvgpr_write_b32 a251, v14           ;  Reload Reuse
	global_load_dwordx2 v[58:59], v[6:7], off
	global_load_dwordx4 v[54:57], v[6:7], off offset:56
	global_load_dwordx4 v[50:53], v[6:7], off offset:120
	global_load_dwordx2 v[14:15], v[6:7], off offset:184
	global_load_dwordx2 v[16:17], v[0:1], off
	global_load_dwordx2 v[18:19], v[0:1], off offset:64
	v_accvgpr_write_b32 a249, v36           ;  Reload Reuse
	v_mov_b32_e32 v174, 1
	v_mov_b32_e32 v175, 2
	v_mov_b32_e32 v176, -1
	v_mov_b32_e32 v177, 4
	v_mov_b32_e32 v48, 0xe48e0530
	;; [unrolled: 1-line block ×4, first 2 shown]
	s_mov_b64 s[8:9], 0
	v_mov_b32_e32 v29, 0
	v_add_u32_e32 v74, 40, v28
	v_mov_b32_e32 v182, v176
	v_mov_b32_e32 v183, v176
                                        ; implicit-def: $sgpr36_sgpr37
	s_waitcnt vmcnt(9)
	v_ashrrev_i32_e32 v11, 31, v10
	s_waitcnt vmcnt(8)
	v_ashrrev_i32_e32 v13, 31, v12
	v_lshl_add_u64 v[10:11], v[10:11], 3, v[8:9]
	v_lshl_add_u64 v[8:9], v[12:13], 3, v[8:9]
	global_load_dwordx2 v[20:21], v[10:11], off
	global_load_dwordx2 v[22:23], v[10:11], off offset:64
	global_load_dwordx2 v[24:25], v[10:11], off offset:128
	global_load_dwordx2 v[26:27], v[8:9], off offset:64
	global_load_dwordx2 v[30:31], v[8:9], off
	global_load_dwordx2 v[32:33], v[0:1], off offset:128
	global_load_dwordx2 v[34:35], v[8:9], off offset:128
	s_waitcnt vmcnt(14)
	v_ashrrev_i32_e32 v5, 31, v4
	v_lshl_add_u64 v[0:1], v[4:5], 3, v[6:7]
	global_load_dwordx2 v[36:37], v[0:1], off
	global_load_dwordx2 v[38:39], v[0:1], off offset:64
	global_load_dwordx2 v[40:41], v[0:1], off offset:128
	v_mov_b32_e32 v4, 3
	s_waitcnt vmcnt(16)
	v_ashrrev_i32_e32 v3, 31, v2
	v_lshl_add_u64 v[0:1], v[2:3], 3, v[6:7]
	global_load_dwordx2 v[42:43], v[0:1], off
	global_load_dwordx2 v[44:45], v[0:1], off offset:64
	global_load_dwordx2 v[46:47], v[0:1], off offset:128
	v_mov_b32_e32 v0, 5
	v_mov_b32_e32 v1, 6
	;; [unrolled: 1-line block ×4, first 2 shown]
	scratch_store_dwordx4 off, v[0:3], off offset:56
	scratch_store_dword off, v4, off offset:84
	scratch_store_dwordx4 off, v[174:177], off offset:40
	scratch_store_dword off, v176, off offset:72
	s_waitcnt vmcnt(21)
	v_add_f64 v[62:63], v[54:55], -v[58:59]
	s_waitcnt vmcnt(20)
	v_add_f64 v[60:61], v[50:51], -v[56:57]
	;; [unrolled: 2-line block ×4, first 2 shown]
	v_add_f64 v[12:13], v[16:17], -v[58:59]
	scratch_store_dwordx2 off, v[50:51], off offset:2824 ; 8-byte Folded Spill
	v_mov_b32_e32 v177, v176
	scratch_store_dwordx2 off, v[62:63], off offset:2840 ; 8-byte Folded Spill
	scratch_store_dwordx2 off, v[60:61], off offset:2832 ; 8-byte Folded Spill
	s_waitcnt vmcnt(19)
	v_add_f64 v[4:5], v[20:21], -v[58:59]
	s_waitcnt vmcnt(18)
	v_add_f64 v[8:9], v[22:23], -v[56:57]
	s_waitcnt vmcnt(17)
	v_add_f64 v[10:11], v[24:25], -v[52:53]
	s_waitcnt vmcnt(16)
	v_add_f64 v[6:7], v[26:27], -v[56:57]
	s_waitcnt vmcnt(15)
	v_add_f64 v[0:1], v[30:31], -v[58:59]
	s_waitcnt vmcnt(14)
	v_add_f64 v[16:17], v[32:33], -v[52:53]
	s_waitcnt vmcnt(13)
	v_add_f64 v[2:3], v[34:35], -v[52:53]
	s_waitcnt vmcnt(12)
	v_add_f64 v[66:67], v[36:37], -v[58:59]
	s_waitcnt vmcnt(11)
	v_add_f64 v[64:65], v[38:39], -v[56:57]
	s_waitcnt vmcnt(10)
	v_add_f64 v[54:55], v[40:41], -v[52:53]
	v_mul_f64 v[24:25], v[54:55], v[62:63]
	v_mul_f64 v[22:23], v[64:65], v[50:51]
	v_fma_f64 v[24:25], v[66:67], v[50:51], -v[24:25]
	v_fma_f64 v[22:23], v[54:55], v[60:61], -v[22:23]
	v_mul_f64 v[30:31], v[14:15], v[24:25]
	v_mul_f64 v[32:33], v[8:9], v[24:25]
	;; [unrolled: 1-line block ×4, first 2 shown]
	v_fmac_f64_e32 v[30:31], v[12:13], v[22:23]
	v_fmac_f64_e32 v[32:33], v[4:5], v[22:23]
	;; [unrolled: 1-line block ×3, first 2 shown]
	v_mov_b64_e32 v[22:23], v[56:57]
	v_accvgpr_write_b32 a254, v23           ;  Reload Reuse
	v_mul_f64 v[18:19], v[66:67], v[60:61]
	v_accvgpr_write_b32 a252, v59           ;  Reload Reuse
	v_accvgpr_write_b32 a255, v22           ;  Reload Reuse
	scratch_store_dwordx2 off, v[20:21], off offset:2808 ; 8-byte Folded Spill
	s_waitcnt vmcnt(9)
	v_add_f64 v[56:57], v[44:45], -v[56:57]
	v_mov_b64_e32 v[22:23], v[52:53]
	s_waitcnt vmcnt(8)
	v_add_f64 v[46:47], v[46:47], -v[52:53]
	v_fma_f64 v[26:27], v[64:65], v[62:63], -v[18:19]
	v_accvgpr_write_b32 a253, v58           ;  Reload Reuse
	v_add_f64 v[58:59], v[42:43], -v[58:59]
	scratch_store_dwordx4 off, v[20:23], off offset:2792 ; 16-byte Folded Spill
	v_mul_f64 v[18:19], v[46:47], v[18:19]
	v_fmac_f64_e32 v[30:31], v[16:17], v[26:27]
	v_mul_f64 v[22:23], v[66:67], v[56:57]
	v_fmac_f64_e32 v[32:33], v[10:11], v[26:27]
	v_fmac_f64_e32 v[34:35], v[2:3], v[26:27]
	v_mul_f64 v[26:27], v[58:59], v[60:61]
	v_fma_f64 v[18:19], v[22:23], v[50:51], -v[18:19]
	v_mul_f64 v[24:25], v[64:65], v[58:59]
	v_fmac_f64_e32 v[18:19], v[54:55], v[26:27]
	v_fma_f64 v[18:19], -v[24:25], v[50:51], v[18:19]
	v_mul_f64 v[36:37], v[56:57], v[62:63]
	v_mul_f64 v[38:39], v[46:47], v[60:61]
	v_fmac_f64_e32 v[18:19], v[46:47], v[20:21]
	v_mul_f64 v[40:41], v[58:59], v[50:51]
	v_fma_f64 v[38:39], v[56:57], v[50:51], -v[38:39]
	v_fma_f64 v[50:51], -v[54:55], v[36:37], v[18:19]
	v_fmac_f64_e32 v[48:49], v[50:51], v[50:51]
	v_div_scale_f64 v[18:19], s[0:1], v[48:49], v[48:49], v[50:51]
	v_rcp_f64_e32 v[20:21], v[18:19]
	v_fma_f64 v[40:41], v[46:47], v[62:63], -v[40:41]
	v_mul_f64 v[26:27], v[14:15], v[40:41]
	v_mul_f64 v[44:45], v[8:9], v[40:41]
	;; [unrolled: 1-line block ×3, first 2 shown]
	v_fmac_f64_e32 v[26:27], v[12:13], v[38:39]
	v_fmac_f64_e32 v[44:45], v[4:5], v[38:39]
	v_fmac_f64_e32 v[40:41], v[0:1], v[38:39]
	v_fma_f64 v[38:39], -v[18:19], v[20:21], 1.0
	v_fmac_f64_e32 v[20:21], v[20:21], v[38:39]
	v_fma_f64 v[38:39], -v[18:19], v[20:21], 1.0
	v_fma_f64 v[42:43], v[58:59], v[60:61], -v[36:37]
	v_div_scale_f64 v[36:37], vcc, v[50:51], v[48:49], v[50:51]
	v_fmac_f64_e32 v[20:21], v[20:21], v[38:39]
	v_mul_f64 v[38:39], v[36:37], v[20:21]
	v_fma_f64 v[18:19], -v[18:19], v[38:39], v[36:37]
	s_nop 0
	v_div_fmas_f64 v[18:19], v[18:19], v[20:21], v[38:39]
	v_fmac_f64_e32 v[26:27], v[16:17], v[42:43]
	v_div_fixup_f64 v[18:19], v[18:19], v[48:49], v[50:51]
	v_fmac_f64_e32 v[44:45], v[10:11], v[42:43]
	v_fmac_f64_e32 v[40:41], v[2:3], v[42:43]
	v_fma_f64 v[20:21], -v[26:27], v[18:19], 1.0
	v_mul_f64 v[26:27], v[26:27], v[18:19]
	scratch_store_dwordx2 off, v[50:51], off offset:2848 ; 8-byte Folded Spill
	v_fma_f64 v[36:37], -v[44:45], v[18:19], 1.0
	scratch_store_dwordx2 off, v[26:27], off offset:2784 ; 8-byte Folded Spill
	v_fma_f64 v[26:27], -v[40:41], v[18:19], 1.0
	v_fma_f64 v[50:51], -v[30:31], v[18:19], v[20:21]
	v_mul_f64 v[42:43], v[44:45], v[18:19]
	v_mul_f64 v[178:179], v[30:31], v[18:19]
	;; [unrolled: 1-line block ×5, first 2 shown]
	v_fma_f64 v[52:53], -v[32:33], v[18:19], v[36:37]
	v_fma_f64 v[20:21], -v[34:35], v[18:19], v[26:27]
	v_mov_b64_e32 v[26:27], v[50:51]
	scratch_store_dwordx4 off, v[50:53], off
	scratch_store_dwordx2 off, v[20:21], off offset:16
.LBB4_7:                                ; =>This Inner Loop Header: Depth=1
	v_lshl_add_u32 v30, v29, 2, v74
	scratch_load_dword v32, v30, off
	v_cmp_le_f64_e32 vcc, 0, v[26:27]
	v_cmp_gt_f64_e64 s[0:1], 0, v[26:27]
	s_waitcnt vmcnt(0)
	v_max_i32_e32 v33, 0, v32
	v_lshl_add_u32 v30, v33, 3, v28
	scratch_load_dwordx2 v[30:31], v30, off
	v_cmp_gt_i32_e64 s[2:3], 0, v32
	s_waitcnt vmcnt(0)
	v_cmp_gt_f64_e64 s[4:5], 0, v[30:31]
	v_cmp_le_f64_e64 s[6:7], 0, v[30:31]
	s_and_b64 vcc, vcc, s[4:5]
	s_and_b64 s[4:5], s[0:1], s[6:7]
	s_or_b64 s[8:9], s[2:3], s[8:9]
	s_andn2_b64 s[2:3], s[36:37], exec
	s_and_b64 s[0:1], s[0:1], exec
	v_mov_b64_e32 v[26:27], v[30:31]
	v_cndmask_b32_e32 v183, v183, v33, vcc
	v_cndmask_b32_e64 v177, v177, v33, s[4:5]
	v_cndmask_b32_e32 v176, v176, v29, vcc
	v_cndmask_b32_e64 v182, v182, v29, s[4:5]
	v_mov_b32_e32 v29, v32
	s_or_b64 s[36:37], s[2:3], s[0:1]
	s_andn2_b64 exec, exec, s[8:9]
	s_cbranch_execnz .LBB4_7
; %bb.8:
	s_or_b64 exec, exec, s[8:9]
	v_mul_f64 v[28:29], v[66:67], v[46:47]
	v_mul_f64 v[26:27], v[54:55], v[56:57]
	v_fma_f64 v[28:29], v[54:55], v[58:59], -v[28:29]
	v_fma_f64 v[26:27], v[64:65], v[46:47], -v[26:27]
	v_mul_f64 v[8:9], v[8:9], v[28:29]
	v_mul_f64 v[14:15], v[14:15], v[28:29]
	v_fmac_f64_e32 v[8:9], v[4:5], v[26:27]
	v_mul_f64 v[4:5], v[6:7], v[28:29]
	v_add_f64 v[22:23], v[22:23], -v[24:25]
	v_fmac_f64_e32 v[14:15], v[12:13], v[26:27]
	v_fmac_f64_e32 v[4:5], v[0:1], v[26:27]
	;; [unrolled: 1-line block ×5, first 2 shown]
	v_mul_f64 v[254:255], v[14:15], v[18:19]
	v_mul_f64 v[184:185], v[8:9], v[18:19]
	;; [unrolled: 1-line block ×3, first 2 shown]
	v_fma_f64 v[188:189], -v[14:15], v[18:19], v[50:51]
	v_fma_f64 v[174:175], -v[8:9], v[18:19], v[52:53]
	;; [unrolled: 1-line block ×3, first 2 shown]
	v_cmp_lt_i32_e64 s[0:1], -1, v176
	v_mov_b32_e32 v34, -1
	v_mov_b32_e32 v32, -1
	;; [unrolled: 1-line block ×3, first 2 shown]
	scratch_store_dwordx2 off, v[56:57], off offset:2872 ; 8-byte Folded Spill
	scratch_store_dwordx2 off, v[64:65], off offset:2880 ; 8-byte Folded Spill
	;; [unrolled: 1-line block ×6, first 2 shown]
	s_mov_b64 s[38:39], exec
                                        ; implicit-def: $vgpr0_vgpr1_vgpr2_vgpr3_vgpr4_vgpr5_vgpr6_vgpr7_vgpr8_vgpr9_vgpr10_vgpr11_vgpr12_vgpr13_vgpr14_vgpr15_vgpr16_vgpr17_vgpr18_vgpr19_vgpr20_vgpr21_vgpr22_vgpr23_vgpr24_vgpr25_vgpr26_vgpr27_vgpr28_vgpr29_vgpr30_vgpr31
                                        ; kill: killed $vgpr0_vgpr1_vgpr2_vgpr3_vgpr4_vgpr5_vgpr6_vgpr7_vgpr8_vgpr9_vgpr10_vgpr11_vgpr12_vgpr13_vgpr14_vgpr15_vgpr16_vgpr17_vgpr18_vgpr19_vgpr20_vgpr21_vgpr22_vgpr23_vgpr24_vgpr25_vgpr26_vgpr27_vgpr28_vgpr29_vgpr30_vgpr31
                                        ; implicit-def: $agpr144_agpr145_agpr146_agpr147_agpr148_agpr149_agpr150_agpr151_agpr152_agpr153_agpr154_agpr155_agpr156_agpr157_agpr158_agpr159_agpr160_agpr161_agpr162_agpr163_agpr164_agpr165_agpr166_agpr167_agpr168_agpr169_agpr170_agpr171_agpr172_agpr173_agpr174_agpr175
                                        ; implicit-def: $agpr32_agpr33_agpr34_agpr35_agpr36_agpr37_agpr38_agpr39_agpr40_agpr41_agpr42_agpr43_agpr44_agpr45_agpr46_agpr47_agpr48_agpr49_agpr50_agpr51_agpr52_agpr53_agpr54_agpr55_agpr56_agpr57_agpr58_agpr59_agpr60_agpr61_agpr62_agpr63
                                        ; implicit-def: $agpr82_agpr83_agpr84_agpr85_agpr86_agpr87_agpr88_agpr89_agpr90_agpr91_agpr92_agpr93_agpr94_agpr95_agpr96_agpr97_agpr98_agpr99_agpr100_agpr101_agpr102_agpr103_agpr104_agpr105_agpr106_agpr107_agpr108_agpr109_agpr110_agpr111_agpr112_agpr113
	s_and_b64 s[2:3], s[38:39], s[0:1]
                                        ; implicit-def: $vgpr0_vgpr1_vgpr2_vgpr3_vgpr4_vgpr5_vgpr6_vgpr7_vgpr8_vgpr9_vgpr10_vgpr11_vgpr12_vgpr13_vgpr14_vgpr15_vgpr16_vgpr17_vgpr18_vgpr19_vgpr20_vgpr21_vgpr22_vgpr23_vgpr24_vgpr25_vgpr26_vgpr27_vgpr28_vgpr29_vgpr30_vgpr31
                                        ; kill: killed $vgpr0_vgpr1_vgpr2_vgpr3_vgpr4_vgpr5_vgpr6_vgpr7_vgpr8_vgpr9_vgpr10_vgpr11_vgpr12_vgpr13_vgpr14_vgpr15_vgpr16_vgpr17_vgpr18_vgpr19_vgpr20_vgpr21_vgpr22_vgpr23_vgpr24_vgpr25_vgpr26_vgpr27_vgpr28_vgpr29_vgpr30_vgpr31
                                        ; implicit-def: $agpr160_agpr161_agpr162_agpr163_agpr164_agpr165_agpr166_agpr167_agpr168_agpr169_agpr170_agpr171_agpr172_agpr173_agpr174_agpr175_agpr176_agpr177_agpr178_agpr179_agpr180_agpr181_agpr182_agpr183_agpr184_agpr185_agpr186_agpr187_agpr188_agpr189_agpr190_agpr191
                                        ; implicit-def: $agpr98_agpr99_agpr100_agpr101_agpr102_agpr103_agpr104_agpr105_agpr106_agpr107_agpr108_agpr109_agpr110_agpr111_agpr112_agpr113_agpr114_agpr115_agpr116_agpr117_agpr118_agpr119_agpr120_agpr121_agpr122_agpr123_agpr124_agpr125_agpr126_agpr127_agpr128_agpr129
                                        ; implicit-def: $vgpr142_vgpr143_vgpr144_vgpr145_vgpr146_vgpr147_vgpr148_vgpr149_vgpr150_vgpr151_vgpr152_vgpr153_vgpr154_vgpr155_vgpr156_vgpr157_vgpr158_vgpr159_vgpr160_vgpr161_vgpr162_vgpr163_vgpr164_vgpr165_vgpr166_vgpr167_vgpr168_vgpr169_vgpr170_vgpr171_vgpr172_vgpr173
                                        ; implicit-def: $vgpr110_vgpr111_vgpr112_vgpr113_vgpr114_vgpr115_vgpr116_vgpr117_vgpr118_vgpr119_vgpr120_vgpr121_vgpr122_vgpr123_vgpr124_vgpr125_vgpr126_vgpr127_vgpr128_vgpr129_vgpr130_vgpr131_vgpr132_vgpr133_vgpr134_vgpr135_vgpr136_vgpr137_vgpr138_vgpr139_vgpr140_vgpr141
                                        ; implicit-def: $vgpr76_vgpr77_vgpr78_vgpr79_vgpr80_vgpr81_vgpr82_vgpr83_vgpr84_vgpr85_vgpr86_vgpr87_vgpr88_vgpr89_vgpr90_vgpr91_vgpr92_vgpr93_vgpr94_vgpr95_vgpr96_vgpr97_vgpr98_vgpr99_vgpr100_vgpr101_vgpr102_vgpr103_vgpr104_vgpr105_vgpr106_vgpr107
                                        ; implicit-def: $agpr16_agpr17_agpr18_agpr19_agpr20_agpr21_agpr22_agpr23_agpr24_agpr25_agpr26_agpr27_agpr28_agpr29_agpr30_agpr31_agpr32_agpr33_agpr34_agpr35_agpr36_agpr37_agpr38_agpr39_agpr40_agpr41_agpr42_agpr43_agpr44_agpr45_agpr46_agpr47
                                        ; implicit-def: $agpr216_agpr217_agpr218_agpr219_agpr220_agpr221_agpr222_agpr223_agpr224_agpr225_agpr226_agpr227_agpr228_agpr229_agpr230_agpr231_agpr232_agpr233_agpr234_agpr235_agpr236_agpr237_agpr238_agpr239_agpr240_agpr241_agpr242_agpr243_agpr244_agpr245_agpr246_agpr247
                                        ; implicit-def: $vgpr222_vgpr223_vgpr224_vgpr225_vgpr226_vgpr227_vgpr228_vgpr229_vgpr230_vgpr231_vgpr232_vgpr233_vgpr234_vgpr235_vgpr236_vgpr237_vgpr238_vgpr239_vgpr240_vgpr241_vgpr242_vgpr243_vgpr244_vgpr245_vgpr246_vgpr247_vgpr248_vgpr249_vgpr250_vgpr251_vgpr252_vgpr253
                                        ; implicit-def: $vgpr120_vgpr121_vgpr122_vgpr123_vgpr124_vgpr125_vgpr126_vgpr127_vgpr128_vgpr129_vgpr130_vgpr131_vgpr132_vgpr133_vgpr134_vgpr135_vgpr136_vgpr137_vgpr138_vgpr139_vgpr140_vgpr141_vgpr142_vgpr143_vgpr144_vgpr145_vgpr146_vgpr147_vgpr148_vgpr149_vgpr150_vgpr151
                                        ; implicit-def: $vgpr0_vgpr1_vgpr2_vgpr3_vgpr4_vgpr5_vgpr6_vgpr7_vgpr8_vgpr9_vgpr10_vgpr11_vgpr12_vgpr13_vgpr14_vgpr15_vgpr16_vgpr17_vgpr18_vgpr19_vgpr20_vgpr21_vgpr22_vgpr23_vgpr24_vgpr25_vgpr26_vgpr27_vgpr28_vgpr29_vgpr30_vgpr31
                                        ; kill: killed $vgpr0_vgpr1_vgpr2_vgpr3_vgpr4_vgpr5_vgpr6_vgpr7_vgpr8_vgpr9_vgpr10_vgpr11_vgpr12_vgpr13_vgpr14_vgpr15_vgpr16_vgpr17_vgpr18_vgpr19_vgpr20_vgpr21_vgpr22_vgpr23_vgpr24_vgpr25_vgpr26_vgpr27_vgpr28_vgpr29_vgpr30_vgpr31
                                        ; implicit-def: $agpr174_agpr175_agpr176_agpr177_agpr178_agpr179_agpr180_agpr181_agpr182_agpr183_agpr184_agpr185_agpr186_agpr187_agpr188_agpr189_agpr190_agpr191_agpr192_agpr193_agpr194_agpr195_agpr196_agpr197_agpr198_agpr199_agpr200_agpr201_agpr202_agpr203_agpr204_agpr205
                                        ; implicit-def: $vgpr190_vgpr191_vgpr192_vgpr193_vgpr194_vgpr195_vgpr196_vgpr197_vgpr198_vgpr199_vgpr200_vgpr201_vgpr202_vgpr203_vgpr204_vgpr205_vgpr206_vgpr207_vgpr208_vgpr209_vgpr210_vgpr211_vgpr212_vgpr213_vgpr214_vgpr215_vgpr216_vgpr217_vgpr218_vgpr219_vgpr220_vgpr221
                                        ; implicit-def: $agpr50_agpr51_agpr52_agpr53_agpr54_agpr55_agpr56_agpr57_agpr58_agpr59_agpr60_agpr61_agpr62_agpr63_agpr64_agpr65_agpr66_agpr67_agpr68_agpr69_agpr70_agpr71_agpr72_agpr73_agpr74_agpr75_agpr76_agpr77_agpr78_agpr79_agpr80_agpr81
                                        ; implicit-def: $agpr0_agpr1_agpr2_agpr3_agpr4_agpr5_agpr6_agpr7_agpr8_agpr9_agpr10_agpr11_agpr12_agpr13_agpr14_agpr15_agpr16_agpr17_agpr18_agpr19_agpr20_agpr21_agpr22_agpr23_agpr24_agpr25_agpr26_agpr27_agpr28_agpr29_agpr30_agpr31
                                        ; implicit-def: $vgpr86_vgpr87_vgpr88_vgpr89_vgpr90_vgpr91_vgpr92_vgpr93_vgpr94_vgpr95_vgpr96_vgpr97_vgpr98_vgpr99_vgpr100_vgpr101_vgpr102_vgpr103_vgpr104_vgpr105_vgpr106_vgpr107_vgpr108_vgpr109_vgpr110_vgpr111_vgpr112_vgpr113_vgpr114_vgpr115_vgpr116_vgpr117
                                        ; implicit-def: $agpr112_agpr113_agpr114_agpr115_agpr116_agpr117_agpr118_agpr119_agpr120_agpr121_agpr122_agpr123_agpr124_agpr125_agpr126_agpr127_agpr128_agpr129_agpr130_agpr131_agpr132_agpr133_agpr134_agpr135_agpr136_agpr137_agpr138_agpr139_agpr140_agpr141_agpr142_agpr143
                                        ; implicit-def: $vgpr0_vgpr1_vgpr2_vgpr3_vgpr4_vgpr5_vgpr6_vgpr7_vgpr8_vgpr9_vgpr10_vgpr11_vgpr12_vgpr13_vgpr14_vgpr15_vgpr16_vgpr17_vgpr18_vgpr19_vgpr20_vgpr21_vgpr22_vgpr23_vgpr24_vgpr25_vgpr26_vgpr27_vgpr28_vgpr29_vgpr30_vgpr31
                                        ; kill: killed $vgpr0_vgpr1_vgpr2_vgpr3_vgpr4_vgpr5_vgpr6_vgpr7_vgpr8_vgpr9_vgpr10_vgpr11_vgpr12_vgpr13_vgpr14_vgpr15_vgpr16_vgpr17_vgpr18_vgpr19_vgpr20_vgpr21_vgpr22_vgpr23_vgpr24_vgpr25_vgpr26_vgpr27_vgpr28_vgpr29_vgpr30_vgpr31
                                        ; implicit-def: $agpr186_agpr187_agpr188_agpr189_agpr190_agpr191_agpr192_agpr193_agpr194_agpr195_agpr196_agpr197_agpr198_agpr199_agpr200_agpr201_agpr202_agpr203_agpr204_agpr205_agpr206_agpr207_agpr208_agpr209_agpr210_agpr211_agpr212_agpr213_agpr214_agpr215_agpr216_agpr217
                                        ; implicit-def: $vgpr0_vgpr1_vgpr2_vgpr3_vgpr4_vgpr5_vgpr6_vgpr7_vgpr8_vgpr9_vgpr10_vgpr11_vgpr12_vgpr13_vgpr14_vgpr15_vgpr16_vgpr17_vgpr18_vgpr19_vgpr20_vgpr21_vgpr22_vgpr23_vgpr24_vgpr25_vgpr26_vgpr27_vgpr28_vgpr29_vgpr30_vgpr31
                                        ; kill: killed $vgpr0_vgpr1_vgpr2_vgpr3_vgpr4_vgpr5_vgpr6_vgpr7_vgpr8_vgpr9_vgpr10_vgpr11_vgpr12_vgpr13_vgpr14_vgpr15_vgpr16_vgpr17_vgpr18_vgpr19_vgpr20_vgpr21_vgpr22_vgpr23_vgpr24_vgpr25_vgpr26_vgpr27_vgpr28_vgpr29_vgpr30_vgpr31
                                        ; implicit-def: $vgpr0_vgpr1_vgpr2_vgpr3_vgpr4_vgpr5_vgpr6_vgpr7_vgpr8_vgpr9_vgpr10_vgpr11_vgpr12_vgpr13_vgpr14_vgpr15_vgpr16_vgpr17_vgpr18_vgpr19_vgpr20_vgpr21_vgpr22_vgpr23_vgpr24_vgpr25_vgpr26_vgpr27_vgpr28_vgpr29_vgpr30_vgpr31
                                        ; kill: killed $vgpr0_vgpr1_vgpr2_vgpr3_vgpr4_vgpr5_vgpr6_vgpr7_vgpr8_vgpr9_vgpr10_vgpr11_vgpr12_vgpr13_vgpr14_vgpr15_vgpr16_vgpr17_vgpr18_vgpr19_vgpr20_vgpr21_vgpr22_vgpr23_vgpr24_vgpr25_vgpr26_vgpr27_vgpr28_vgpr29_vgpr30_vgpr31
	;; [unrolled: 2-line block ×17, first 2 shown]
	s_mov_b64 exec, s[2:3]
	s_cbranch_execz .LBB4_10
; %bb.9:
	v_mov_b32_e32 v4, 0
	v_lshl_add_u32 v5, v183, 3, v4
	v_lshl_add_u32 v6, v176, 3, v4
	scratch_load_dwordx2 v[0:1], v5, off
	scratch_load_dwordx2 v[2:3], v6, off
	scratch_load_dwordx2 v[28:29], off, off offset:2784 ; 8-byte Folded Reload
	v_cmp_eq_u32_e64 s[2:3], 1, v176
	v_mov_b64_e32 v[26:27], v[42:43]
	v_cmp_eq_u32_e64 s[4:5], 1, v183
	v_cmp_eq_u32_e64 s[8:9], 2, v176
	v_mov_b64_e32 v[24:25], v[44:45]
	v_cmp_eq_u32_e64 s[6:7], 2, v183
	v_lshl_add_u32 v12, v182, 3, v4
	v_cmp_eq_u32_e64 s[14:15], 3, v176
	v_cmp_eq_u32_e64 s[10:11], 3, v183
	v_lshl_add_u32 v13, v177, 3, v4
	v_mov_b64_e32 v[32:33], v[48:49]
	v_cndmask_b32_e64 v9, v179, v33, s[2:3]
	v_mov_b64_e32 v[30:31], v[38:39]
	v_cndmask_b32_e64 v10, v178, v32, s[2:3]
	v_cndmask_b32_e64 v11, v179, v33, s[4:5]
	;; [unrolled: 1-line block ×3, first 2 shown]
	v_cmp_eq_u32_e64 s[18:19], 4, v176
	v_cmp_eq_u32_e64 s[12:13], 4, v183
	v_cndmask_b32_e64 v10, v10, v30, s[8:9]
	v_cndmask_b32_e64 v11, v11, v31, s[6:7]
	v_cmp_eq_u32_e64 s[22:23], 5, v176
	v_cmp_eq_u32_e64 s[16:17], 5, v183
	;; [unrolled: 1-line block ×8, first 2 shown]
                                        ; implicit-def: $agpr144_agpr145_agpr146_agpr147_agpr148_agpr149_agpr150_agpr151_agpr152_agpr153_agpr154_agpr155_agpr156_agpr157_agpr158_agpr159_agpr160_agpr161_agpr162_agpr163_agpr164_agpr165_agpr166_agpr167_agpr168_agpr169_agpr170_agpr171_agpr172_agpr173_agpr174_agpr175
                                        ; implicit-def: $agpr82_agpr83_agpr84_agpr85_agpr86_agpr87_agpr88_agpr89_agpr90_agpr91_agpr92_agpr93_agpr94_agpr95_agpr96_agpr97_agpr98_agpr99_agpr100_agpr101_agpr102_agpr103_agpr104_agpr105_agpr106_agpr107_agpr108_agpr109_agpr110_agpr111_agpr112_agpr113
                                        ; implicit-def: $agpr160_agpr161_agpr162_agpr163_agpr164_agpr165_agpr166_agpr167_agpr168_agpr169_agpr170_agpr171_agpr172_agpr173_agpr174_agpr175_agpr176_agpr177_agpr178_agpr179_agpr180_agpr181_agpr182_agpr183_agpr184_agpr185_agpr186_agpr187_agpr188_agpr189_agpr190_agpr191
                                        ; implicit-def: $agpr32_agpr33_agpr34_agpr35_agpr36_agpr37_agpr38_agpr39_agpr40_agpr41_agpr42_agpr43_agpr44_agpr45_agpr46_agpr47_agpr48_agpr49_agpr50_agpr51_agpr52_agpr53_agpr54_agpr55_agpr56_agpr57_agpr58_agpr59_agpr60_agpr61_agpr62_agpr63
                                        ; implicit-def: $agpr98_agpr99_agpr100_agpr101_agpr102_agpr103_agpr104_agpr105_agpr106_agpr107_agpr108_agpr109_agpr110_agpr111_agpr112_agpr113_agpr114_agpr115_agpr116_agpr117_agpr118_agpr119_agpr120_agpr121_agpr122_agpr123_agpr124_agpr125_agpr126_agpr127_agpr128_agpr129
                                        ; implicit-def: $agpr174_agpr175_agpr176_agpr177_agpr178_agpr179_agpr180_agpr181_agpr182_agpr183_agpr184_agpr185_agpr186_agpr187_agpr188_agpr189_agpr190_agpr191_agpr192_agpr193_agpr194_agpr195_agpr196_agpr197_agpr198_agpr199_agpr200_agpr201_agpr202_agpr203_agpr204_agpr205
                                        ; implicit-def: $vgpr142_vgpr143_vgpr144_vgpr145_vgpr146_vgpr147_vgpr148_vgpr149_vgpr150_vgpr151_vgpr152_vgpr153_vgpr154_vgpr155_vgpr156_vgpr157_vgpr158_vgpr159_vgpr160_vgpr161_vgpr162_vgpr163_vgpr164_vgpr165_vgpr166_vgpr167_vgpr168_vgpr169_vgpr170_vgpr171_vgpr172_vgpr173
                                        ; implicit-def: $agpr216_agpr217_agpr218_agpr219_agpr220_agpr221_agpr222_agpr223_agpr224_agpr225_agpr226_agpr227_agpr228_agpr229_agpr230_agpr231_agpr232_agpr233_agpr234_agpr235_agpr236_agpr237_agpr238_agpr239_agpr240_agpr241_agpr242_agpr243_agpr244_agpr245_agpr246_agpr247
                                        ; implicit-def: $vgpr120_vgpr121_vgpr122_vgpr123_vgpr124_vgpr125_vgpr126_vgpr127_vgpr128_vgpr129_vgpr130_vgpr131_vgpr132_vgpr133_vgpr134_vgpr135_vgpr136_vgpr137_vgpr138_vgpr139_vgpr140_vgpr141_vgpr142_vgpr143_vgpr144_vgpr145_vgpr146_vgpr147_vgpr148_vgpr149_vgpr150_vgpr151
                                        ; implicit-def: $agpr16_agpr17_agpr18_agpr19_agpr20_agpr21_agpr22_agpr23_agpr24_agpr25_agpr26_agpr27_agpr28_agpr29_agpr30_agpr31_agpr32_agpr33_agpr34_agpr35_agpr36_agpr37_agpr38_agpr39_agpr40_agpr41_agpr42_agpr43_agpr44_agpr45_agpr46_agpr47
                                        ; implicit-def: $agpr50_agpr51_agpr52_agpr53_agpr54_agpr55_agpr56_agpr57_agpr58_agpr59_agpr60_agpr61_agpr62_agpr63_agpr64_agpr65_agpr66_agpr67_agpr68_agpr69_agpr70_agpr71_agpr72_agpr73_agpr74_agpr75_agpr76_agpr77_agpr78_agpr79_agpr80_agpr81
                                        ; implicit-def: $agpr112_agpr113_agpr114_agpr115_agpr116_agpr117_agpr118_agpr119_agpr120_agpr121_agpr122_agpr123_agpr124_agpr125_agpr126_agpr127_agpr128_agpr129_agpr130_agpr131_agpr132_agpr133_agpr134_agpr135_agpr136_agpr137_agpr138_agpr139_agpr140_agpr141_agpr142_agpr143
                                        ; implicit-def: $agpr186_agpr187_agpr188_agpr189_agpr190_agpr191_agpr192_agpr193_agpr194_agpr195_agpr196_agpr197_agpr198_agpr199_agpr200_agpr201_agpr202_agpr203_agpr204_agpr205_agpr206_agpr207_agpr208_agpr209_agpr210_agpr211_agpr212_agpr213_agpr214_agpr215_agpr216_agpr217
	s_waitcnt vmcnt(2)
	v_cndmask_b32_e64 v9, v9, v0, s[14:15]
	v_cndmask_b32_e64 v10, v10, v0, s[14:15]
	s_waitcnt vmcnt(0)
	v_cndmask_b32_e64 v5, v29, v27, s[2:3]
	v_cndmask_b32_e64 v6, v29, v27, s[4:5]
	;; [unrolled: 1-line block ×8, first 2 shown]
	scratch_load_dwordx2 v[4:5], v12, off
	scratch_load_dwordx2 v[6:7], v13, off
	v_cndmask_b32_e64 v8, v28, v26, s[4:5]
	v_cndmask_b32_e64 v8, v8, v24, s[6:7]
	v_cndmask_b32_e64 v12, v14, v0, s[18:19]
	v_cndmask_b32_e64 v13, v15, v0, s[14:15]
	v_cndmask_b32_e64 v14, v16, v0, s[12:13]
	v_cndmask_b32_e64 v8, v8, v0, s[10:11]
	v_cndmask_b32_e64 v11, v11, v0, s[10:11]
	v_cndmask_b32_e64 v12, v12, v0, s[22:23]
	v_cndmask_b32_e64 v13, v13, v0, s[18:19]
	v_cndmask_b32_e64 v14, v14, v0, s[16:17]
	v_cndmask_b32_e64 v8, v8, v0, s[12:13]
	v_cndmask_b32_e64 v9, v9, v0, s[18:19]
	v_cndmask_b32_e64 v10, v10, v0, s[18:19]
	v_cndmask_b32_e64 v11, v11, v0, s[12:13]
	v_cndmask_b32_e64 v12, v12, v0, s[26:27]
	v_cndmask_b32_e64 v13, v13, v0, s[22:23]
	v_cndmask_b32_e64 v14, v14, v0, s[20:21]
	v_cndmask_b32_e64 v8, v8, v0, s[16:17]
	v_cndmask_b32_e64 v9, v9, v0, s[22:23]
	v_cndmask_b32_e64 v10, v10, v0, s[22:23]
	v_cndmask_b32_e64 v11, v11, v0, s[16:17]
	v_cndmask_b32_e64 v12, v12, v0, s[30:31]
	v_cndmask_b32_e64 v13, v13, v0, s[26:27]
	v_cndmask_b32_e64 v14, v14, v0, s[24:25]
	v_cndmask_b32_e64 v8, v8, v0, s[20:21]
	v_cndmask_b32_e64 v15, v9, v0, s[26:27]
	v_cndmask_b32_e64 v10, v10, v0, s[26:27]
	v_cndmask_b32_e64 v16, v11, v0, s[20:21]
	v_cndmask_b32_e64 v9, v12, v0, s[34:35]
	v_cndmask_b32_e64 v12, v13, v0, s[30:31]
	v_cndmask_b32_e64 v11, v14, v0, s[28:29]
	v_cndmask_b32_e64 v13, v8, v0, s[24:25]
	v_cndmask_b32_e64 v14, v15, v0, s[30:31]
	v_cndmask_b32_e64 v18, v10, v0, s[30:31]
	v_cndmask_b32_e64 v22, v16, v0, s[24:25]
	v_cndmask_b32_e64 v8, v12, v0, s[34:35]
	v_cndmask_b32_e64 v10, v13, v0, s[28:29]
	v_cndmask_b32_e64 v13, v14, v0, s[34:35]
	v_add_f64 v[14:15], -v[0:1], 0
	v_add_f64 v[0:1], v[2:3], -v[0:1]
	v_div_scale_f64 v[2:3], s[40:41], v[0:1], v[0:1], v[14:15]
	v_rcp_f64_e32 v[16:17], v[2:3]
	v_cndmask_b32_e64 v12, v18, v0, s[34:35]
	v_div_scale_f64 v[18:19], vcc, v[14:15], v[0:1], v[14:15]
	v_fma_f64 v[20:21], -v[2:3], v[16:17], 1.0
	v_fmac_f64_e32 v[16:17], v[16:17], v[20:21]
	v_fma_f64 v[20:21], -v[2:3], v[16:17], 1.0
	v_fmac_f64_e32 v[16:17], v[16:17], v[20:21]
	v_mul_f64 v[20:21], v[18:19], v[16:17]
	v_fma_f64 v[2:3], -v[2:3], v[20:21], v[18:19]
	v_div_fmas_f64 v[2:3], v[2:3], v[16:17], v[20:21]
	v_div_fixup_f64 v[0:1], v[2:3], v[0:1], v[14:15]
	v_add_f64 v[2:3], -v[0:1], 1.0
	v_mul_f64 v[14:15], v[10:11], v[2:3]
	v_fmac_f64_e32 v[14:15], v[8:9], v[0:1]
	v_cndmask_b32_e64 v8, v178, v32, s[4:5]
	v_cndmask_b32_e64 v8, v8, v30, s[6:7]
	;; [unrolled: 1-line block ×10, first 2 shown]
	v_mul_f64 v[16:17], v[8:9], v[2:3]
	v_cndmask_b32_e64 v8, v255, v185, s[2:3]
	v_cndmask_b32_e64 v10, v10, v181, s[6:7]
	;; [unrolled: 1-line block ×31, first 2 shown]
	v_mul_f64 v[196:197], v[10:11], v[2:3]
	v_cndmask_b32_e64 v10, v189, v175, s[4:5]
	v_fmac_f64_e32 v[196:197], v[8:9], v[0:1]
	v_cndmask_b32_e64 v8, v189, v175, s[2:3]
	v_cndmask_b32_e64 v10, v10, v187, s[6:7]
	;; [unrolled: 1-line block ×31, first 2 shown]
	v_mul_f64 v[228:229], v[10:11], v[2:3]
	v_fmac_f64_e32 v[16:17], v[12:13], v[0:1]
	v_fmac_f64_e32 v[228:229], v[8:9], v[0:1]
	s_waitcnt vmcnt(1)
	v_add_f64 v[0:1], -v[4:5], 0
	s_waitcnt vmcnt(0)
	v_add_f64 v[2:3], v[6:7], -v[4:5]
	v_div_scale_f64 v[4:5], s[2:3], v[2:3], v[2:3], v[0:1]
	v_rcp_f64_e32 v[6:7], v[4:5]
	v_cmp_eq_u32_e64 s[2:3], 2, v177
	v_cmp_eq_u32_e64 s[4:5], 3, v177
	;; [unrolled: 1-line block ×3, first 2 shown]
	v_fma_f64 v[8:9], -v[4:5], v[6:7], 1.0
	v_fmac_f64_e32 v[6:7], v[6:7], v[8:9]
	v_fma_f64 v[8:9], -v[4:5], v[6:7], 1.0
	v_fmac_f64_e32 v[6:7], v[6:7], v[8:9]
	v_div_scale_f64 v[8:9], vcc, v[0:1], v[2:3], v[0:1]
	v_mul_f64 v[10:11], v[8:9], v[6:7]
	v_fma_f64 v[4:5], -v[4:5], v[10:11], v[8:9]
	v_cmp_eq_u32_e64 s[8:9], 5, v177
	s_nop 0
	v_div_fmas_f64 v[4:5], v[4:5], v[6:7], v[10:11]
	v_cmp_eq_u32_e32 vcc, 1, v177
	v_div_fixup_f64 v[0:1], v[4:5], v[2:3], v[0:1]
	v_cmp_eq_u32_e64 s[10:11], 6, v177
	v_cndmask_b32_e32 v2, v29, v27, vcc
	v_cndmask_b32_e64 v2, v2, v25, s[2:3]
	v_cndmask_b32_e64 v2, v2, v15, s[4:5]
	;; [unrolled: 1-line block ×5, first 2 shown]
	v_cmp_eq_u32_e64 s[12:13], 7, v177
	v_cmp_eq_u32_e64 s[16:17], 1, v182
	;; [unrolled: 1-line block ×3, first 2 shown]
	v_cndmask_b32_e64 v2, v2, v0, s[12:13]
	v_cndmask_b32_e64 v4, v29, v27, s[16:17]
	v_cmp_eq_u32_e64 s[18:19], 2, v182
	v_cndmask_b32_e64 v3, v2, v0, s[14:15]
	v_cndmask_b32_e32 v2, v28, v26, vcc
	v_cndmask_b32_e64 v4, v4, v25, s[18:19]
	v_cmp_eq_u32_e64 s[20:21], 3, v182
	v_cndmask_b32_e64 v2, v2, v24, s[2:3]
	v_cmp_eq_u32_e64 s[22:23], 4, v182
	v_cndmask_b32_e64 v4, v4, v15, s[20:21]
	v_cndmask_b32_e64 v2, v2, v14, s[4:5]
	v_cndmask_b32_e64 v4, v4, v0, s[22:23]
	v_cmp_eq_u32_e64 s[24:25], 5, v182
	v_cndmask_b32_e64 v2, v2, v0, s[6:7]
	v_cmp_eq_u32_e64 s[26:27], 6, v182
	v_cndmask_b32_e64 v4, v4, v0, s[24:25]
	v_cndmask_b32_e64 v2, v2, v0, s[8:9]
	;; [unrolled: 6-line block ×3, first 2 shown]
	v_cndmask_b32_e64 v5, v4, v0, s[30:31]
	v_cndmask_b32_e64 v4, v28, v26, s[16:17]
	v_cndmask_b32_e64 v2, v2, v0, s[14:15]
	v_cndmask_b32_e64 v4, v4, v24, s[18:19]
	v_mov_b64_e32 v[6:7], v[14:15]
	scratch_store_dwordx4 off, v[0:3], off offset:224 ; 16-byte Folded Spill
	s_nop 0
	scratch_store_dwordx4 off, v[4:7], off offset:240 ; 16-byte Folded Spill
	scratch_store_dwordx4 off, v[8:11], off offset:256 ; 16-byte Folded Spill
	;; [unrolled: 1-line block ×7, first 2 shown]
	v_cndmask_b32_e64 v4, v4, v14, s[20:21]
	v_cndmask_b32_e64 v4, v4, v0, s[22:23]
	;; [unrolled: 1-line block ×6, first 2 shown]
	v_add_f64 v[6:7], -v[0:1], 1.0
	v_mul_f64 v[8:9], v[6:7], v[4:5]
	v_fmac_f64_e32 v[8:9], v[0:1], v[2:3]
	scratch_store_dwordx4 off, v[0:3], off offset:96 ; 16-byte Folded Spill
	s_nop 0
	scratch_store_dwordx4 off, v[4:7], off offset:112 ; 16-byte Folded Spill
	scratch_store_dwordx4 off, v[8:11], off offset:128 ; 16-byte Folded Spill
	;; [unrolled: 1-line block ×7, first 2 shown]
	v_cndmask_b32_e32 v2, v179, v33, vcc
	v_cndmask_b32_e32 v3, v178, v32, vcc
	v_cndmask_b32_e64 v5, v178, v32, s[16:17]
	v_mov_b32_e32 v32, 3
	v_cndmask_b32_e64 v2, v2, v31, s[2:3]
	v_cndmask_b32_e64 v3, v3, v30, s[2:3]
	;; [unrolled: 1-line block ×29, first 2 shown]
	v_mul_f64 v[94:95], v[6:7], v[4:5]
	v_fmac_f64_e32 v[94:95], v[0:1], v[2:3]
	v_cndmask_b32_e32 v2, v255, v185, vcc
	v_cndmask_b32_e32 v3, v254, v184, vcc
	v_cndmask_b32_e64 v2, v2, v181, s[2:3]
	v_cndmask_b32_e64 v3, v3, v180, s[2:3]
	;; [unrolled: 1-line block ×30, first 2 shown]
	v_mul_f64 v[84:85], v[6:7], v[4:5]
	v_fmac_f64_e32 v[84:85], v[0:1], v[2:3]
	v_cndmask_b32_e32 v2, v189, v175, vcc
	v_cndmask_b32_e32 v3, v188, v174, vcc
	v_cndmask_b32_e64 v2, v2, v187, s[2:3]
	v_cndmask_b32_e64 v3, v3, v186, s[2:3]
	;; [unrolled: 1-line block ×30, first 2 shown]
	v_mul_f64 v[118:119], v[6:7], v[4:5]
	v_accvgpr_write_b32 a6, v16
	v_fmac_f64_e32 v[118:119], v[0:1], v[2:3]
	v_mov_b32_e32 v0, 5
	v_accvgpr_write_b32 a7, v17
	scratch_store_dword off, v0, off offset:84
                                        ; implicit-def: $vgpr0_vgpr1_vgpr2_vgpr3_vgpr4_vgpr5_vgpr6_vgpr7_vgpr8_vgpr9_vgpr10_vgpr11_vgpr12_vgpr13_vgpr14_vgpr15_vgpr16_vgpr17_vgpr18_vgpr19_vgpr20_vgpr21_vgpr22_vgpr23_vgpr24_vgpr25_vgpr26_vgpr27_vgpr28_vgpr29_vgpr30_vgpr31
                                        ; kill: killed $vgpr0_vgpr1_vgpr2_vgpr3_vgpr4_vgpr5_vgpr6_vgpr7_vgpr8_vgpr9_vgpr10_vgpr11_vgpr12_vgpr13_vgpr14_vgpr15_vgpr16_vgpr17_vgpr18_vgpr19_vgpr20_vgpr21_vgpr22_vgpr23_vgpr24_vgpr25_vgpr26_vgpr27_vgpr28_vgpr29_vgpr30_vgpr31
                                        ; implicit-def: $vgpr0_vgpr1_vgpr2_vgpr3_vgpr4_vgpr5_vgpr6_vgpr7_vgpr8_vgpr9_vgpr10_vgpr11_vgpr12_vgpr13_vgpr14_vgpr15_vgpr16_vgpr17_vgpr18_vgpr19_vgpr20_vgpr21_vgpr22_vgpr23_vgpr24_vgpr25_vgpr26_vgpr27_vgpr28_vgpr29_vgpr30_vgpr31
                                        ; kill: killed $vgpr0_vgpr1_vgpr2_vgpr3_vgpr4_vgpr5_vgpr6_vgpr7_vgpr8_vgpr9_vgpr10_vgpr11_vgpr12_vgpr13_vgpr14_vgpr15_vgpr16_vgpr17_vgpr18_vgpr19_vgpr20_vgpr21_vgpr22_vgpr23_vgpr24_vgpr25_vgpr26_vgpr27_vgpr28_vgpr29_vgpr30_vgpr31
	;; [unrolled: 2-line block ×16, first 2 shown]
                                        ; implicit-def: $vgpr0_vgpr1_vgpr2_vgpr3_vgpr4_vgpr5_vgpr6_vgpr7_vgpr8_vgpr9_vgpr10_vgpr11_vgpr12_vgpr13_vgpr14_vgpr15_vgpr16_vgpr17_vgpr18_vgpr19_vgpr20_vgpr21_vgpr22_vgpr23_vgpr24_vgpr25_vgpr26_vgpr27_vgpr28_vgpr29_vgpr30_vgpr31
	v_mov_b32_e32 v33, 4
                                        ; kill: killed $vgpr0_vgpr1_vgpr2_vgpr3_vgpr4_vgpr5_vgpr6_vgpr7_vgpr8_vgpr9_vgpr10_vgpr11_vgpr12_vgpr13_vgpr14_vgpr15_vgpr16_vgpr17_vgpr18_vgpr19_vgpr20_vgpr21_vgpr22_vgpr23_vgpr24_vgpr25_vgpr26_vgpr27_vgpr28_vgpr29_vgpr30_vgpr31
                                        ; implicit-def: $vgpr0_vgpr1_vgpr2_vgpr3_vgpr4_vgpr5_vgpr6_vgpr7_vgpr8_vgpr9_vgpr10_vgpr11_vgpr12_vgpr13_vgpr14_vgpr15_vgpr16_vgpr17_vgpr18_vgpr19_vgpr20_vgpr21_vgpr22_vgpr23_vgpr24_vgpr25_vgpr26_vgpr27_vgpr28_vgpr29_vgpr30_vgpr31
                                        ; kill: killed $vgpr0_vgpr1_vgpr2_vgpr3_vgpr4_vgpr5_vgpr6_vgpr7_vgpr8_vgpr9_vgpr10_vgpr11_vgpr12_vgpr13_vgpr14_vgpr15_vgpr16_vgpr17_vgpr18_vgpr19_vgpr20_vgpr21_vgpr22_vgpr23_vgpr24_vgpr25_vgpr26_vgpr27_vgpr28_vgpr29_vgpr30_vgpr31
                                        ; implicit-def: $vgpr0_vgpr1_vgpr2_vgpr3_vgpr4_vgpr5_vgpr6_vgpr7_vgpr8_vgpr9_vgpr10_vgpr11_vgpr12_vgpr13_vgpr14_vgpr15_vgpr16_vgpr17_vgpr18_vgpr19_vgpr20_vgpr21_vgpr22_vgpr23_vgpr24_vgpr25_vgpr26_vgpr27_vgpr28_vgpr29_vgpr30_vgpr31
                                        ; kill: killed $vgpr0_vgpr1_vgpr2_vgpr3_vgpr4_vgpr5_vgpr6_vgpr7_vgpr8_vgpr9_vgpr10_vgpr11_vgpr12_vgpr13_vgpr14_vgpr15_vgpr16_vgpr17_vgpr18_vgpr19_vgpr20_vgpr21_vgpr22_vgpr23_vgpr24_vgpr25_vgpr26_vgpr27_vgpr28_vgpr29_vgpr30_vgpr31
.LBB4_10:
	s_or_b64 exec, exec, s[38:39]
	scratch_load_dwordx2 v[112:113], off, off offset:2784 ; 8-byte Folded Reload
	s_mov_b64 s[2:3], 0
	v_mov_b32_e32 v0, 0
	v_mov_b64_e32 v[108:109], v[44:45]
	v_mov_b64_e32 v[110:111], v[42:43]
	;; [unrolled: 1-line block ×4, first 2 shown]
	scratch_store_dword off, v34, off offset:80
	s_branch .LBB4_12
.LBB4_11:                               ;   in Loop: Header=BB4_12 Depth=1
	s_or_b64 exec, exec, s[6:7]
	s_waitcnt vmcnt(0)
	v_cmp_gt_i32_e32 vcc, 0, v1
	s_or_b64 s[2:3], vcc, s[2:3]
	v_mov_b32_e32 v0, v1
	s_andn2_b64 exec, exec, s[2:3]
	s_cbranch_execz .LBB4_18
.LBB4_12:                               ; =>This Inner Loop Header: Depth=1
	v_lshlrev_b32_e32 v1, 2, v0
	v_add_u32_e32 v3, 0, v1
	v_add_u32_e32 v2, v3, v1
	scratch_load_dwordx2 v[4:5], v2, off
	scratch_load_dword v1, v3, off offset:40
	s_mov_b64 s[4:5], 0
                                        ; implicit-def: $vgpr2
	s_waitcnt vmcnt(1)
	v_cmp_ngt_f64_e32 vcc, 0, v[4:5]
	s_and_saveexec_b64 s[6:7], vcc
	s_xor_b64 s[6:7], exec, s[6:7]
	s_cbranch_execnz .LBB4_15
; %bb.13:                               ;   in Loop: Header=BB4_12 Depth=1
	s_andn2_saveexec_b64 s[6:7], s[6:7]
	s_cbranch_execnz .LBB4_16
.LBB4_14:                               ;   in Loop: Header=BB4_12 Depth=1
	s_or_b64 exec, exec, s[6:7]
	s_and_saveexec_b64 s[6:7], s[4:5]
	s_cbranch_execz .LBB4_11
	s_branch .LBB4_17
.LBB4_15:                               ;   in Loop: Header=BB4_12 Depth=1
	scratch_load_dword v2, off, off offset:80
                                        ; implicit-def: $vgpr3
	s_waitcnt vmcnt(0)
	v_cmp_eq_u32_e32 vcc, -1, v2
	v_mov_b32_e32 v2, 0x50
	s_and_b64 s[4:5], vcc, exec
	s_andn2_saveexec_b64 s[6:7], s[6:7]
	s_cbranch_execz .LBB4_14
.LBB4_16:                               ;   in Loop: Header=BB4_12 Depth=1
	scratch_load_dword v4, off, off offset:84
	v_mov_b32_e32 v2, 0x54
	s_or_b64 s[4:5], s[4:5], exec
	s_waitcnt vmcnt(0)
	scratch_store_dword v3, v4, off offset:40
	s_or_b64 exec, exec, s[6:7]
	s_and_saveexec_b64 s[6:7], s[4:5]
	s_cbranch_execz .LBB4_11
.LBB4_17:                               ;   in Loop: Header=BB4_12 Depth=1
	scratch_store_dword v2, v0, off
	s_branch .LBB4_11
.LBB4_18:
	s_or_b64 exec, exec, s[2:3]
	s_and_saveexec_b64 s[2:3], s[0:1]
	s_cbranch_execz .LBB4_20
; %bb.19:
	v_lshlrev_b32_e32 v0, 2, v176
	v_mov_b32_e32 v1, 0
	v_cmp_gt_f64_e32 vcc, 0, v[50:51]
	v_add3_u32 v0, v1, v0, 40
	v_lshlrev_b32_e32 v2, 2, v32
	s_or_b64 s[0:1], s[36:37], vcc
	v_lshlrev_b32_e32 v4, 2, v33
	v_add3_u32 v2, v1, v2, 40
	v_cndmask_b32_e64 v3, v177, -1, s[0:1]
	v_add3_u32 v1, v1, v4, 40
	scratch_store_dword v0, v32, off
	scratch_store_dword v2, v33, off
	;; [unrolled: 1-line block ×3, first 2 shown]
.LBB4_20:
	s_or_b64 exec, exec, s[2:3]
	scratch_load_dword v101, off, off offset:80
	scratch_load_dwordx4 v[12:15], off, off offset:224 ; 16-byte Folded Reload
	scratch_load_dwordx4 v[16:19], off, off offset:240 ; 16-byte Folded Reload
	scratch_load_dwordx4 v[20:23], off, off offset:256 ; 16-byte Folded Reload
	scratch_load_dwordx4 v[24:27], off, off offset:272 ; 16-byte Folded Reload
	scratch_load_dwordx4 v[28:31], off, off offset:288 ; 16-byte Folded Reload
	scratch_load_dwordx4 v[32:35], off, off offset:304 ; 16-byte Folded Reload
	scratch_load_dwordx4 v[36:39], off, off offset:320 ; 16-byte Folded Reload
	scratch_load_dwordx4 v[40:43], off, off offset:336 ; 16-byte Folded Reload
	v_accvgpr_read_b32 v11, a197
	v_mov_b64_e32 v[98:99], -1
	v_mov_b32_e32 v102, -1
	v_mov_b32_e32 v100, -1
	v_mov_b64_e32 v[66:67], v[98:99]
	s_waitcnt vmcnt(8)
	v_cmp_eq_u32_e32 vcc, 1, v101
	s_waitcnt vmcnt(6)
	v_mov_b64_e32 v[6:7], v[18:19]
	scratch_load_dwordx4 v[12:15], off, off offset:96 ; 16-byte Folded Reload
	scratch_load_dwordx4 v[16:19], off, off offset:112 ; 16-byte Folded Reload
	;; [unrolled: 1-line block ×8, first 2 shown]
	v_cndmask_b32_e32 v0, v113, v111, vcc
	v_cmp_eq_u32_e64 s[0:1], 2, v101
	v_cmp_eq_u32_e64 s[2:3], 3, v101
	v_cndmask_b32_e32 v1, v112, v110, vcc
	v_cndmask_b32_e64 v0, v0, v109, s[0:1]
	v_cndmask_b32_e64 v0, v0, v7, s[2:3]
	;; [unrolled: 1-line block ×3, first 2 shown]
	v_cmp_eq_u32_e32 vcc, 4, v101
	v_cndmask_b32_e64 v1, v1, v6, s[2:3]
	v_cmp_eq_u32_e64 s[0:1], 5, v101
	s_waitcnt vmcnt(7)
	v_accvgpr_read_b32 v13, a229
	s_waitcnt vmcnt(5)
	v_mov_b64_e32 v[8:9], v[20:21]
	v_cndmask_b32_e32 v0, v0, v9, vcc
	v_cndmask_b32_e64 v0, v0, v11, s[0:1]
	v_cndmask_b32_e32 v1, v1, v8, vcc
	v_cmp_eq_u32_e32 vcc, 6, v101
	s_nop 1
	v_cndmask_b32_e32 v0, v0, v13, vcc
	scratch_load_dwordx4 v[2:5], off, off offset:2528 ; 16-byte Folded Reload
	scratch_load_dwordx4 v[6:9], off, off offset:2544 ; 16-byte Folded Reload
	;; [unrolled: 1-line block ×8, first 2 shown]
	s_waitcnt vmcnt(4)
	v_accvgpr_read_b32 v15, a127
	v_cndmask_b32_e64 v1, v1, v12, s[0:1]
	v_cmp_eq_u32_e64 s[0:1], 7, v101
	s_nop 1
	v_cndmask_b32_e64 v0, v0, v15, s[0:1]
	scratch_load_dwordx4 v[2:5], off, off offset:2400 ; 16-byte Folded Reload
	scratch_load_dwordx4 v[6:9], off, off offset:2416 ; 16-byte Folded Reload
	;; [unrolled: 1-line block ×8, first 2 shown]
	s_waitcnt vmcnt(4)
	v_cndmask_b32_e32 v1, v1, v14, vcc
	scratch_load_dwordx4 v[2:5], off, off offset:2272 ; 16-byte Folded Reload
	scratch_load_dwordx4 v[6:9], off, off offset:2288 ; 16-byte Folded Reload
	;; [unrolled: 1-line block ×8, first 2 shown]
	v_cmp_eq_u32_e32 vcc, 8, v101
	s_waitcnt vmcnt(4)
	v_cndmask_b32_e64 v1, v1, v16, s[0:1]
	scratch_load_dwordx4 v[2:5], off, off offset:2016 ; 16-byte Folded Reload
	scratch_load_dwordx4 v[6:9], off, off offset:2032 ; 16-byte Folded Reload
	;; [unrolled: 1-line block ×8, first 2 shown]
	v_cmp_lt_i32_e64 s[0:1], -1, v101
	s_waitcnt vmcnt(3)
	v_cndmask_b32_e32 v105, v0, v19, vcc
	scratch_load_dwordx4 v[4:7], off, off offset:2144 ; 16-byte Folded Reload
	scratch_load_dwordx4 v[8:11], off, off offset:2160 ; 16-byte Folded Reload
	;; [unrolled: 1-line block ×8, first 2 shown]
	s_waitcnt vmcnt(3)
	v_cndmask_b32_e32 v104, v1, v20, vcc
	v_mov_b64_e32 v[0:1], 0
	s_and_saveexec_b64 s[10:11], s[0:1]
	s_cbranch_execz .LBB4_24
; %bb.21:
	scratch_load_dwordx4 v[12:15], off, off offset:224 ; 16-byte Folded Reload
	scratch_load_dwordx4 v[16:19], off, off offset:240 ; 16-byte Folded Reload
	scratch_load_dwordx4 v[20:23], off, off offset:256 ; 16-byte Folded Reload
	scratch_load_dwordx4 v[24:27], off, off offset:272 ; 16-byte Folded Reload
	scratch_load_dwordx4 v[28:31], off, off offset:288 ; 16-byte Folded Reload
	scratch_load_dwordx4 v[32:35], off, off offset:304 ; 16-byte Folded Reload
	scratch_load_dwordx4 v[36:39], off, off offset:320 ; 16-byte Folded Reload
	scratch_load_dwordx4 v[40:43], off, off offset:336 ; 16-byte Folded Reload
	scratch_load_dwordx4 v[20:23], off, off offset:96 ; 16-byte Folded Reload
	scratch_load_dwordx4 v[24:27], off, off offset:112 ; 16-byte Folded Reload
	scratch_load_dwordx4 v[28:31], off, off offset:128 ; 16-byte Folded Reload
	scratch_load_dwordx4 v[32:35], off, off offset:144 ; 16-byte Folded Reload
	scratch_load_dwordx4 v[36:39], off, off offset:160 ; 16-byte Folded Reload
	scratch_load_dwordx4 v[40:43], off, off offset:176 ; 16-byte Folded Reload
	scratch_load_dwordx4 v[44:47], off, off offset:192 ; 16-byte Folded Reload
	scratch_load_dwordx4 v[48:51], off, off offset:208 ; 16-byte Folded Reload
	s_mov_b64 s[12:13], 0
	v_mov_b32_e32 v102, -1
	v_mov_b32_e32 v53, v101
	v_mov_b32_e32 v98, -1
	v_mov_b32_e32 v66, -1
	;; [unrolled: 1-line block ×3, first 2 shown]
	v_mov_b64_e32 v[54:55], v[104:105]
	v_mov_b32_e32 v52, v74
	s_waitcnt vmcnt(2)
	v_accvgpr_read_b32 v41, a197
	v_mov_b64_e32 v[56:57], v[18:19]
	v_mov_b64_e32 v[38:39], v[28:29]
	scratch_load_dwordx4 v[6:9], off, off offset:2016 ; 16-byte Folded Reload
	scratch_load_dwordx4 v[10:13], off, off offset:2032 ; 16-byte Folded Reload
	;; [unrolled: 1-line block ×8, first 2 shown]
	s_waitcnt vmcnt(0)
	v_accvgpr_read_b32 v35, a127
	v_accvgpr_read_b32 v37, a229
	v_mov_b32_e32 v43, v23
	scratch_load_dwordx4 v[2:5], off, off offset:2144 ; 16-byte Folded Reload
	scratch_load_dwordx4 v[6:9], off, off offset:2160 ; 16-byte Folded Reload
	scratch_load_dwordx4 v[10:13], off, off offset:2176 ; 16-byte Folded Reload
	scratch_load_dwordx4 v[14:17], off, off offset:2192 ; 16-byte Folded Reload
	scratch_load_dwordx4 v[18:21], off, off offset:2208 ; 16-byte Folded Reload
	scratch_load_dwordx4 v[22:25], off, off offset:2224 ; 16-byte Folded Reload
	scratch_load_dwordx4 v[26:29], off, off offset:2240 ; 16-byte Folded Reload
	scratch_load_dwordx4 v[30:33], off, off offset:2256 ; 16-byte Folded Reload
	s_waitcnt vmcnt(0)
	v_mov_b32_e32 v32, v18
	scratch_load_dwordx4 v[0:3], off, off offset:2272 ; 16-byte Folded Reload
	scratch_load_dwordx4 v[4:7], off, off offset:2288 ; 16-byte Folded Reload
	scratch_load_dwordx4 v[8:11], off, off offset:2304 ; 16-byte Folded Reload
	scratch_load_dwordx4 v[12:15], off, off offset:2320 ; 16-byte Folded Reload
	scratch_load_dwordx4 v[16:19], off, off offset:2336 ; 16-byte Folded Reload
	scratch_load_dwordx4 v[20:23], off, off offset:2352 ; 16-byte Folded Reload
	scratch_load_dwordx4 v[24:27], off, off offset:2368 ; 16-byte Folded Reload
	scratch_load_dwordx4 v[28:31], off, off offset:2384 ; 16-byte Folded Reload
	s_waitcnt vmcnt(4)
	;; [unrolled: 10-line block ×3, first 2 shown]
	v_mov_b32_e32 v36, v12
	scratch_load_dwordx4 v[0:3], off, off offset:2528 ; 16-byte Folded Reload
	scratch_load_dwordx4 v[4:7], off, off offset:2544 ; 16-byte Folded Reload
	scratch_load_dwordx4 v[8:11], off, off offset:2560 ; 16-byte Folded Reload
	scratch_load_dwordx4 v[12:15], off, off offset:2576 ; 16-byte Folded Reload
	scratch_load_dwordx4 v[16:19], off, off offset:2592 ; 16-byte Folded Reload
	scratch_load_dwordx4 v[20:23], off, off offset:2608 ; 16-byte Folded Reload
	scratch_load_dwordx4 v[24:27], off, off offset:2624 ; 16-byte Folded Reload
	scratch_load_dwordx4 v[28:31], off, off offset:2640 ; 16-byte Folded Reload
.LBB4_22:                               ; =>This Inner Loop Header: Depth=1
	s_waitcnt vmcnt(7)
	v_lshl_add_u32 v0, v53, 2, v52
	scratch_load_dword v7, v0, off
	s_waitcnt vmcnt(0)
	v_cmp_gt_i32_e32 vcc, 0, v7
	s_nop 1
	v_cndmask_b32_e32 v13, v7, v101, vcc
	v_cmp_eq_u32_e64 s[2:3], 1, v13
	v_cmp_eq_u32_e64 s[4:5], 2, v13
	;; [unrolled: 1-line block ×3, first 2 shown]
	v_cndmask_b32_e64 v0, v113, v111, s[2:3]
	v_cndmask_b32_e64 v1, v112, v110, s[2:3]
	;; [unrolled: 1-line block ×5, first 2 shown]
	v_cmp_eq_u32_e64 s[2:3], 4, v13
	v_cndmask_b32_e64 v1, v1, v56, s[6:7]
	v_cmp_eq_u32_e64 s[4:5], 5, v13
	v_cndmask_b32_e64 v0, v0, v39, s[2:3]
	v_cndmask_b32_e64 v1, v1, v38, s[2:3]
	v_cndmask_b32_e64 v0, v0, v41, s[4:5]
	v_cmp_eq_u32_e64 s[2:3], 6, v13
	v_cndmask_b32_e64 v1, v1, v10, s[4:5]
	v_cmp_eq_u32_e64 s[4:5], 7, v13
	v_cndmask_b32_e64 v0, v0, v37, s[2:3]
	v_cndmask_b32_e64 v1, v1, v36, s[2:3]
	;; [unrolled: 1-line block ×4, first 2 shown]
	v_cmp_eq_u32_e64 s[2:3], 8, v13
	s_nop 1
	v_cndmask_b32_e64 v17, v0, v43, s[2:3]
	v_cndmask_b32_e64 v16, v1, v32, s[2:3]
	v_mov_b64_e32 v[0:1], v[54:55]
	v_cmp_le_f64_e64 s[2:3], 0, v[0:1]
	v_cmp_gt_f64_e64 s[4:5], 0, v[0:1]
	v_cmp_gt_f64_e64 s[6:7], 0, v[16:17]
	v_cmp_le_f64_e64 s[8:9], 0, v[16:17]
	s_and_b64 s[2:3], s[2:3], s[6:7]
	s_and_b64 s[4:5], s[4:5], s[8:9]
	v_cndmask_b32_e64 v66, v66, v13, s[2:3]
	v_cndmask_b32_e64 v100, v100, v13, s[4:5]
	;; [unrolled: 1-line block ×4, first 2 shown]
	s_or_b64 s[12:13], vcc, s[12:13]
	v_mov_b32_e32 v53, v7
	v_mov_b64_e32 v[54:55], v[16:17]
	s_andn2_b64 exec, exec, s[12:13]
	s_cbranch_execnz .LBB4_22
; %bb.23:
	s_or_b64 exec, exec, s[12:13]
.LBB4_24:
	s_or_b64 exec, exec, s[10:11]
	v_cmp_lt_i32_e64 s[2:3], -1, v102
	v_mov_b32_e32 v8, -1
	v_mov_b32_e32 v7, -1
	;; [unrolled: 1-line block ×3, first 2 shown]
	s_and_saveexec_b64 s[52:53], s[2:3]
	s_cbranch_execz .LBB4_26
; %bb.25:
	scratch_load_dwordx4 v[12:15], off, off offset:224 ; 16-byte Folded Reload
	scratch_load_dwordx4 v[16:19], off, off offset:240 ; 16-byte Folded Reload
	;; [unrolled: 1-line block ×16, first 2 shown]
	s_waitcnt vmcnt(6)
	v_accvgpr_read_b32 v41, a127
	scratch_load_dwordx4 a[112:115], off, off offset:2528 ; 16-byte Folded Reload
	scratch_load_dwordx4 a[116:119], off, off offset:2544 ; 16-byte Folded Reload
	;; [unrolled: 1-line block ×8, first 2 shown]
	v_cmp_eq_u32_e64 s[4:5], 1, v66
	v_cmp_eq_u32_e64 s[6:7], 2, v66
	;; [unrolled: 1-line block ×3, first 2 shown]
	v_cndmask_b32_e64 v5, v113, v111, s[4:5]
	v_cndmask_b32_e64 v5, v5, v109, s[6:7]
	v_cmp_eq_u32_e64 s[10:11], 4, v66
	v_cmp_eq_u32_e64 s[12:13], 5, v66
	v_accvgpr_read_b32 v11, a197
	v_cmp_eq_u32_e64 s[14:15], 6, v66
	s_waitcnt vmcnt(13)
	v_accvgpr_read_b32 v45, a229
	v_cmp_eq_u32_e64 s[16:17], 7, v66
	v_cmp_eq_u32_e64 s[18:19], 8, v66
	;; [unrolled: 1-line block ×3, first 2 shown]
	v_cndmask_b32_e64 v6, v112, v110, s[4:5]
	v_cmp_eq_u32_e64 s[22:23], 2, v102
	v_cndmask_b32_e64 v9, v112, v110, s[20:21]
	v_cndmask_b32_e64 v6, v6, v108, s[6:7]
	v_cmp_eq_u32_e64 s[24:25], 3, v102
	v_cndmask_b32_e64 v9, v9, v108, s[22:23]
	v_cmp_eq_u32_e64 s[26:27], 4, v102
	v_cmp_eq_u32_e64 s[28:29], 5, v102
	;; [unrolled: 1-line block ×5, first 2 shown]
	v_accvgpr_read_b32 v73, a185
	v_accvgpr_read_b32 v71, a173
	v_mov_b64_e32 v[32:33], v[18:19]
	v_cndmask_b32_e64 v5, v5, v33, s[8:9]
	v_cndmask_b32_e64 v5, v5, v43, s[10:11]
	s_waitcnt vmcnt(5)
	v_accvgpr_read_b32 v10, a122
	scratch_load_dwordx4 a[112:115], off, off offset:2400 ; 16-byte Folded Reload
	scratch_load_dwordx4 a[116:119], off, off offset:2416 ; 16-byte Folded Reload
	;; [unrolled: 1-line block ×8, first 2 shown]
	v_cndmask_b32_e64 v5, v5, v11, s[12:13]
	v_cndmask_b32_e64 v5, v5, v45, s[14:15]
	;; [unrolled: 1-line block ×9, first 2 shown]
	s_waitcnt vmcnt(4)
	v_accvgpr_read_b32 v12, a124
	scratch_load_dwordx4 a[112:115], off, off offset:2272 ; 16-byte Folded Reload
	scratch_load_dwordx4 a[116:119], off, off offset:2288 ; 16-byte Folded Reload
	scratch_load_dwordx4 a[120:123], off, off offset:2304 ; 16-byte Folded Reload
	scratch_load_dwordx4 a[124:127], off, off offset:2320 ; 16-byte Folded Reload
	scratch_load_dwordx4 a[128:131], off, off offset:2336 ; 16-byte Folded Reload
	scratch_load_dwordx4 a[132:135], off, off offset:2352 ; 16-byte Folded Reload
	scratch_load_dwordx4 a[136:139], off, off offset:2368 ; 16-byte Folded Reload
	scratch_load_dwordx4 a[140:143], off, off offset:2384 ; 16-byte Folded Reload
	v_cndmask_b32_e64 v6, v6, v12, s[14:15]
	v_cndmask_b32_e64 v9, v9, v12, s[30:31]
	s_waitcnt vmcnt(4)
	v_accvgpr_read_b32 v14, a126
	scratch_load_dwordx4 a[112:115], off, off offset:2016 ; 16-byte Folded Reload
	scratch_load_dwordx4 a[116:119], off, off offset:2032 ; 16-byte Folded Reload
	scratch_load_dwordx4 a[120:123], off, off offset:2048 ; 16-byte Folded Reload
	scratch_load_dwordx4 a[124:127], off, off offset:2064 ; 16-byte Folded Reload
	scratch_load_dwordx4 a[128:131], off, off offset:2080 ; 16-byte Folded Reload
	scratch_load_dwordx4 a[132:135], off, off offset:2096 ; 16-byte Folded Reload
	scratch_load_dwordx4 a[136:139], off, off offset:2112 ; 16-byte Folded Reload
	scratch_load_dwordx4 a[140:143], off, off offset:2128 ; 16-byte Folded Reload
	v_cndmask_b32_e64 v6, v6, v14, s[16:17]
	v_cndmask_b32_e64 v9, v9, v14, s[34:35]
	;; [unrolled: 12-line block ×3, first 2 shown]
	v_cndmask_b32_e64 v5, v5, v109, s[22:23]
	v_cndmask_b32_e64 v5, v5, v33, s[24:25]
	;; [unrolled: 1-line block ×9, first 2 shown]
	s_waitcnt vmcnt(3)
	v_accvgpr_read_b32 v38, a128
	v_cndmask_b32_e64 v6, v6, v38, s[18:19]
	v_cndmask_b32_e64 v16, v9, v38, s[38:39]
	v_add_f64 v[18:19], -v[6:7], 0
	v_add_f64 v[20:21], v[16:17], -v[6:7]
	v_div_scale_f64 v[22:23], s[36:37], v[20:21], v[20:21], v[18:19]
	v_rcp_f64_e32 v[24:25], v[22:23]
	s_nop 0
	v_fma_f64 v[26:27], -v[22:23], v[24:25], 1.0
	v_fmac_f64_e32 v[24:25], v[24:25], v[26:27]
	v_fma_f64 v[26:27], -v[22:23], v[24:25], 1.0
	v_fmac_f64_e32 v[24:25], v[24:25], v[26:27]
	v_div_scale_f64 v[26:27], vcc, v[18:19], v[20:21], v[18:19]
	v_mul_f64 v[28:29], v[26:27], v[24:25]
	v_fma_f64 v[22:23], -v[22:23], v[28:29], v[26:27]
	v_accvgpr_read_b32 v26, a32
	s_nop 0
	v_div_fmas_f64 v[22:23], v[22:23], v[24:25], v[28:29]
	v_div_fixup_f64 v[30:31], v[22:23], v[20:21], v[18:19]
	v_add_f64 v[34:35], -v[30:31], 1.0
	v_mul_f64 v[36:37], v[6:7], v[34:35]
	scratch_load_dword v7, off, off offset:84
	v_fmac_f64_e32 v[36:37], v[16:17], v[30:31]
	v_cndmask_b32_e64 v19, v178, v116, s[20:21]
	v_cndmask_b32_e64 v19, v19, v114, s[22:23]
	s_waitcnt vmcnt(0)
	v_cmp_eq_u32_e64 s[36:37], 3, v7
	s_nop 1
	v_cndmask_b32_e64 v47, v32, v36, s[36:37]
	v_cndmask_b32_e64 v50, v33, v37, s[36:37]
	v_accvgpr_read_b32 v33, a7
	v_accvgpr_read_b32 v32, a6
	scratch_load_dwordx4 a[0:3], off, off offset:1888 ; 16-byte Folded Reload
	scratch_load_dwordx4 a[4:7], off, off offset:1904 ; 16-byte Folded Reload
	;; [unrolled: 1-line block ×8, first 2 shown]
	v_cmp_eq_u32_e64 s[44:45], 6, v7
	v_cmp_eq_u32_e32 vcc, 4, v7
	v_cndmask_b32_e64 v5, v5, v33, s[24:25]
	v_cndmask_b32_e64 v17, v45, v37, s[44:45]
	v_cndmask_b32_e32 v46, v43, v37, vcc
	v_cndmask_b32_e64 v13, v12, v36, s[44:45]
	v_cndmask_b32_e64 v19, v19, v32, s[24:25]
	;; [unrolled: 1-line block ×4, first 2 shown]
	v_cmp_eq_u32_e64 s[42:43], 7, v7
	v_cmp_eq_u32_e64 s[40:41], 8, v7
	;; [unrolled: 1-line block ×3, first 2 shown]
	v_cndmask_b32_e64 v9, v14, v36, s[42:43]
	v_accvgpr_read_b32 v14, a64
	v_cndmask_b32_e64 v6, v38, v36, s[40:41]
	v_cndmask_b32_e64 v20, v39, v37, s[40:41]
	v_cndmask_b32_e32 v29, v42, v36, vcc
	v_cndmask_b32_e64 v18, v41, v37, s[42:43]
	v_cndmask_b32_e64 v16, v11, v37, s[46:47]
	;; [unrolled: 1-line block ×3, first 2 shown]
	s_waitcnt vmcnt(5)
	v_accvgpr_read_b32 v51, a11
	scratch_load_dwordx4 a[0:3], off, off offset:1760 ; 16-byte Folded Reload
	scratch_load_dwordx4 a[4:7], off, off offset:1776 ; 16-byte Folded Reload
	scratch_load_dwordx4 a[8:11], off, off offset:1792 ; 16-byte Folded Reload
	scratch_load_dwordx4 a[12:15], off, off offset:1808 ; 16-byte Folded Reload
	scratch_load_dwordx4 a[16:19], off, off offset:1824 ; 16-byte Folded Reload
	scratch_load_dwordx4 a[20:23], off, off offset:1840 ; 16-byte Folded Reload
	scratch_load_dwordx4 a[24:27], off, off offset:1856 ; 16-byte Folded Reload
	scratch_load_dwordx4 a[28:31], off, off offset:1872 ; 16-byte Folded Reload
	v_cndmask_b32_e64 v5, v5, v51, s[28:29]
	s_waitcnt vmcnt(4)
	v_accvgpr_read_b32 v45, a13
	scratch_load_dwordx4 a[0:3], off, off offset:1632 ; 16-byte Folded Reload
	scratch_load_dwordx4 a[4:7], off, off offset:1648 ; 16-byte Folded Reload
	scratch_load_dwordx4 a[8:11], off, off offset:1664 ; 16-byte Folded Reload
	scratch_load_dwordx4 a[12:15], off, off offset:1680 ; 16-byte Folded Reload
	scratch_load_dwordx4 a[16:19], off, off offset:1696 ; 16-byte Folded Reload
	scratch_load_dwordx4 a[20:23], off, off offset:1712 ; 16-byte Folded Reload
	scratch_load_dwordx4 a[24:27], off, off offset:1728 ; 16-byte Folded Reload
	scratch_load_dwordx4 a[28:31], off, off offset:1744 ; 16-byte Folded Reload
	v_cndmask_b32_e64 v5, v5, v45, s[30:31]
	;; [unrolled: 11-line block ×5, first 2 shown]
	v_cndmask_b32_e64 v19, v19, v14, s[34:35]
	v_cndmask_b32_e64 v22, v19, v26, s[38:39]
	;; [unrolled: 1-line block ×15, first 2 shown]
	s_waitcnt vmcnt(3)
	v_accvgpr_read_b32 v27, a17
	scratch_load_dwordx4 a[0:3], off, off offset:1120 ; 16-byte Folded Reload
	scratch_load_dwordx4 a[4:7], off, off offset:1136 ; 16-byte Folded Reload
	;; [unrolled: 1-line block ×8, first 2 shown]
	v_cndmask_b32_e64 v23, v5, v27, s[38:39]
	v_cndmask_b32_e64 v5, v179, v117, s[4:5]
	;; [unrolled: 1-line block ×13, first 2 shown]
	v_mul_f64 v[38:39], v[24:25], v[34:35]
	v_fmac_f64_e32 v[38:39], v[22:23], v[30:31]
	v_cndmask_b32_e64 v21, v28, v38, s[46:47]
	v_cndmask_b32_e64 v28, v27, v39, s[40:41]
	;; [unrolled: 1-line block ×6, first 2 shown]
	v_accvgpr_read_b32 v12, a110
	v_cndmask_b32_e64 v23, v14, v38, s[42:43]
	v_accvgpr_read_b32 v14, a96
	v_cndmask_b32_e64 v48, v32, v38, s[36:37]
	v_cndmask_b32_e64 v49, v33, v39, s[36:37]
	v_accvgpr_read_b32 v33, a49
	v_cndmask_b32_e64 v25, v51, v39, s[46:47]
	v_cndmask_b32_e32 v51, v94, v38, vcc
	v_cndmask_b32_e32 v52, v95, v39, vcc
	s_waitcnt vmcnt(5)
	v_accvgpr_read_b32 v63, a11
	scratch_load_dwordx4 a[0:3], off, off offset:736 ; 16-byte Folded Reload
	scratch_load_dwordx4 a[4:7], off, off offset:752 ; 16-byte Folded Reload
	scratch_load_dwordx4 a[8:11], off, off offset:768 ; 16-byte Folded Reload
	scratch_load_dwordx4 a[12:15], off, off offset:784 ; 16-byte Folded Reload
	scratch_load_dwordx4 a[16:19], off, off offset:800 ; 16-byte Folded Reload
	scratch_load_dwordx4 a[20:23], off, off offset:816 ; 16-byte Folded Reload
	scratch_load_dwordx4 a[24:27], off, off offset:832 ; 16-byte Folded Reload
	scratch_load_dwordx4 a[28:31], off, off offset:848 ; 16-byte Folded Reload
	v_cndmask_b32_e64 v5, v5, v63, s[28:29]
	s_waitcnt vmcnt(4)
	v_accvgpr_read_b32 v61, a13
	scratch_load_dwordx4 a[0:3], off, off offset:992 ; 16-byte Folded Reload
	scratch_load_dwordx4 a[4:7], off, off offset:1008 ; 16-byte Folded Reload
	scratch_load_dwordx4 a[8:11], off, off offset:1024 ; 16-byte Folded Reload
	scratch_load_dwordx4 a[12:15], off, off offset:1040 ; 16-byte Folded Reload
	scratch_load_dwordx4 a[16:19], off, off offset:1056 ; 16-byte Folded Reload
	scratch_load_dwordx4 a[20:23], off, off offset:1072 ; 16-byte Folded Reload
	scratch_load_dwordx4 a[24:27], off, off offset:1088 ; 16-byte Folded Reload
	scratch_load_dwordx4 a[28:31], off, off offset:1104 ; 16-byte Folded Reload
	v_cndmask_b32_e64 v5, v5, v61, s[30:31]
	;; [unrolled: 11-line block ×6, first 2 shown]
	v_cndmask_b32_e64 v5, v255, v185, s[4:5]
	v_cndmask_b32_e64 v5, v5, v181, s[6:7]
	v_cndmask_b32_e64 v5, v5, v197, s[8:9]
	v_cndmask_b32_e64 v5, v5, v85, s[10:11]
	v_cndmask_b32_e64 v5, v5, v63, s[12:13]
	v_cndmask_b32_e64 v5, v5, v61, s[14:15]
	v_cndmask_b32_e64 v5, v5, v59, s[16:17]
	v_cndmask_b32_e64 v45, v5, v57, s[18:19]
	v_cndmask_b32_e64 v5, v189, v175, s[4:5]
	v_cndmask_b32_e64 v5, v5, v187, s[6:7]
	v_cndmask_b32_e64 v5, v5, v229, s[8:9]
	v_cndmask_b32_e64 v5, v5, v119, s[10:11]
	v_cndmask_b32_e64 v5, v5, v73, s[12:13]
	v_cndmask_b32_e64 v5, v5, v71, s[14:15]
	s_waitcnt vmcnt(3)
	v_accvgpr_read_b32 v54, a16
	v_cndmask_b32_e64 v42, v19, v54, s[38:39]
	v_cndmask_b32_e64 v19, v254, v184, s[4:5]
	v_cndmask_b32_e64 v19, v19, v180, s[6:7]
	v_cndmask_b32_e64 v19, v19, v196, s[8:9]
	v_cndmask_b32_e64 v19, v19, v84, s[10:11]
	v_cndmask_b32_e64 v19, v19, v130, s[12:13]
	v_cndmask_b32_e64 v19, v19, v58, s[14:15]
	v_cndmask_b32_e64 v19, v19, v56, s[16:17]
	v_cndmask_b32_e64 v44, v19, v54, s[18:19]
	v_mul_f64 v[44:45], v[44:45], v[34:35]
	v_fmac_f64_e32 v[44:45], v[42:43], v[30:31]
	v_cndmask_b32_e64 v53, v54, v44, s[40:41]
	v_cndmask_b32_e64 v54, v56, v44, s[42:43]
	v_cndmask_b32_e64 v56, v130, v44, s[46:47]
	scratch_load_dwordx4 v[120:123], off, off offset:2656 ; 16-byte Folded Reload
	scratch_load_dwordx4 v[124:127], off, off offset:2672 ; 16-byte Folded Reload
	;; [unrolled: 1-line block ×8, first 2 shown]
	v_cndmask_b32_e64 v19, v188, v174, s[4:5]
	v_cndmask_b32_e64 v19, v19, v186, s[6:7]
	;; [unrolled: 1-line block ×5, first 2 shown]
	v_accvgpr_read_b32 v43, a159
	v_cndmask_b32_e64 v19, v19, v12, s[14:15]
	v_cndmask_b32_e64 v5, v5, v43, s[16:17]
	;; [unrolled: 1-line block ×11, first 2 shown]
	v_cmp_eq_u32_e64 s[4:5], 2, v7
	v_cndmask_b32_e64 v60, v63, v45, s[46:47]
	v_cndmask_b32_e64 v63, v196, v44, s[36:37]
	;; [unrolled: 1-line block ×13, first 2 shown]
	v_cmp_eq_u32_e64 s[6:7], 2, v98
	v_cmp_eq_u32_e64 s[8:9], 3, v98
	;; [unrolled: 1-line block ×6, first 2 shown]
	v_cndmask_b32_e32 v61, v84, v44, vcc
	v_cndmask_b32_e32 v62, v85, v45, vcc
	s_waitcnt vmcnt(3)
	v_mov_b32_e32 v32, v136
	v_cndmask_b32_e64 v40, v19, v32, s[18:19]
	v_cndmask_b32_e64 v19, v188, v174, s[20:21]
	;; [unrolled: 1-line block ×8, first 2 shown]
	v_mul_f64 v[34:35], v[40:41], v[34:35]
	v_cndmask_b32_e64 v41, v5, v33, s[38:39]
	v_cndmask_b32_e64 v40, v19, v32, s[38:39]
	v_fmac_f64_e32 v[34:35], v[40:41], v[30:31]
	v_lshlrev_b32_e32 v5, 2, v7
	v_mov_b32_e32 v30, 0
	v_add3_u32 v5, v30, v5, 40
	scratch_load_dword v19, v5, off
	v_cmp_eq_u32_e64 s[24:25], 1, v7
	v_cmp_eq_u32_e64 s[28:29], 0, v7
	;; [unrolled: 1-line block ×3, first 2 shown]
	v_cndmask_b32_e64 v78, v111, v37, s[24:25]
	v_cndmask_b32_e64 v79, v113, v37, s[28:29]
	;; [unrolled: 1-line block ×4, first 2 shown]
	v_cmp_eq_u32_e64 s[22:23], 2, v100
	v_cmp_eq_u32_e64 s[26:27], 3, v100
	;; [unrolled: 1-line block ×3, first 2 shown]
	v_cndmask_b32_e64 v32, v32, v77, s[22:23]
	v_cndmask_b32_e64 v32, v32, v50, s[26:27]
	v_cndmask_b32_e64 v70, v228, v34, s[36:37]
	v_cndmask_b32_e64 v75, v229, v35, s[36:37]
	v_cndmask_b32_e64 v32, v32, v46, s[30:31]
	v_cmp_eq_u32_e64 s[36:37], 5, v100
	v_cndmask_b32_e64 v68, v33, v35, s[40:41]
	v_cmp_eq_u32_e64 s[40:41], 6, v100
	v_cndmask_b32_e64 v32, v32, v16, s[36:37]
	v_cndmask_b32_e64 v14, v14, v34, s[42:43]
	;; [unrolled: 1-line block ×4, first 2 shown]
	v_cmp_eq_u32_e64 s[42:43], 7, v100
	v_cndmask_b32_e64 v66, v12, v34, s[44:45]
	v_cndmask_b32_e64 v12, v71, v35, s[44:45]
	;; [unrolled: 1-line block ×7, first 2 shown]
	v_cmp_eq_u32_e64 s[4:5], 1, v98
	v_cndmask_b32_e64 v32, v32, v18, s[42:43]
	v_cmp_eq_u32_e64 s[44:45], 8, v100
	v_cndmask_b32_e64 v4, v76, v73, s[4:5]
	v_cndmask_b32_e64 v4, v4, v72, s[6:7]
	;; [unrolled: 1-line block ×13, first 2 shown]
	v_cmp_eq_u32_e64 s[18:19], 8, v98
	v_cndmask_b32_e64 v4, v4, v9, s[16:17]
	v_cndmask_b32_e64 v32, v32, v9, s[42:43]
	;; [unrolled: 1-line block ×9, first 2 shown]
	v_cndmask_b32_e32 v90, v118, v34, vcc
	v_cndmask_b32_e64 v92, v174, v34, s[24:25]
	v_cndmask_b32_e64 v93, v188, v34, s[28:29]
	v_cndmask_b32_e32 v96, v119, v35, vcc
	v_cndmask_b32_e64 v98, v175, v35, s[24:25]
	v_cndmask_b32_e64 v99, v189, v35, s[28:29]
	;; [unrolled: 1-line block ×6, first 2 shown]
	s_waitcnt vmcnt(0)
	v_lshlrev_b32_e32 v5, 2, v19
	v_add3_u32 v5, v30, v5, 40
	scratch_load_dword v42, v5, off
	v_cndmask_b32_e64 v5, v79, v78, s[4:5]
	v_cndmask_b32_e64 v5, v5, v77, s[6:7]
	;; [unrolled: 1-line block ×8, first 2 shown]
	v_add_f64 v[30:31], -v[4:5], 0
	v_add_f64 v[36:37], v[32:33], -v[4:5]
	v_div_scale_f64 v[38:39], s[34:35], v[36:37], v[36:37], v[30:31]
	v_rcp_f64_e32 v[40:41], v[38:39]
	v_cmp_eq_u32_e64 s[24:25], 3, v19
	v_cmp_eq_u32_e64 s[28:29], 2, v19
	;; [unrolled: 1-line block ×3, first 2 shown]
	v_fma_f64 v[34:35], -v[38:39], v[40:41], 1.0
	v_fmac_f64_e32 v[40:41], v[40:41], v[34:35]
	v_fma_f64 v[34:35], -v[38:39], v[40:41], 1.0
	v_fmac_f64_e32 v[40:41], v[40:41], v[34:35]
	v_div_scale_f64 v[34:35], vcc, v[30:31], v[36:37], v[30:31]
	v_cmp_eq_u32_e64 s[38:39], 0, v19
	s_waitcnt vmcnt(0)
	scratch_store_dword off, v42, off offset:84
	v_mul_f64 v[42:43], v[34:35], v[40:41]
	v_fma_f64 v[34:35], -v[38:39], v[42:43], v[34:35]
	v_div_fmas_f64 v[34:35], v[34:35], v[40:41], v[42:43]
	v_div_fixup_f64 v[30:31], v[34:35], v[36:37], v[30:31]
	v_add_f64 v[34:35], -v[30:31], 1.0
	v_mul_f64 v[4:5], v[4:5], v[34:35]
	v_fmac_f64_e32 v[4:5], v[32:33], v[30:31]
	v_cmp_eq_u32_e32 vcc, 4, v19
	v_cndmask_b32_e64 v109, v77, v5, s[28:29]
	v_cndmask_b32_e64 v108, v72, v4, s[28:29]
	v_cndmask_b32_e32 v33, v46, v5, vcc
	v_cndmask_b32_e32 v32, v29, v4, vcc
	scratch_store_dwordx4 off, v[24:27], off offset:96 ; 16-byte Folded Spill
	s_nop 0
	scratch_store_dwordx4 off, v[28:31], off offset:112 ; 16-byte Folded Spill
	scratch_store_dwordx4 off, v[32:35], off offset:128 ; 16-byte Folded Spill
	;; [unrolled: 1-line block ×7, first 2 shown]
	v_cndmask_b32_e64 v111, v78, v5, s[34:35]
	v_cndmask_b32_e64 v110, v73, v4, s[34:35]
	;; [unrolled: 1-line block ×6, first 2 shown]
	scratch_store_dwordx4 off, v[26:29], off offset:224 ; 16-byte Folded Spill
	s_nop 0
	scratch_store_dwordx4 off, v[30:33], off offset:240 ; 16-byte Folded Spill
	scratch_store_dwordx4 off, v[34:37], off offset:256 ; 16-byte Folded Spill
	scratch_store_dwordx4 off, v[38:41], off offset:272 ; 16-byte Folded Spill
	scratch_store_dwordx4 off, v[42:45], off offset:288 ; 16-byte Folded Spill
	scratch_store_dwordx4 off, v[46:49], off offset:304 ; 16-byte Folded Spill
	scratch_store_dwordx4 off, v[50:53], off offset:320 ; 16-byte Folded Spill
	scratch_store_dwordx4 off, v[54:57], off offset:336 ; 16-byte Folded Spill
	v_cndmask_b32_e64 v29, v85, v84, s[20:21]
	v_cndmask_b32_e64 v29, v29, v83, s[22:23]
	;; [unrolled: 1-line block ×38, first 2 shown]
	v_mul_f64 v[36:37], v[36:37], v[34:35]
	v_cndmask_b32_e64 v29, v29, v58, s[42:43]
	v_fmac_f64_e32 v[36:37], v[32:33], v[30:31]
	v_cndmask_b32_e64 v33, v29, v57, s[44:45]
	v_cndmask_b32_e64 v29, v44, v87, s[20:21]
	;; [unrolled: 1-line block ×31, first 2 shown]
	v_mul_f64 v[38:39], v[38:39], v[34:35]
	v_cndmask_b32_e64 v29, v29, v69, s[42:43]
	v_fmac_f64_e32 v[38:39], v[32:33], v[30:31]
	v_cndmask_b32_e64 v33, v29, v68, s[44:45]
	v_cndmask_b32_e64 v29, v93, v92, s[20:21]
	;; [unrolled: 1-line block ×25, first 2 shown]
	v_mul_f64 v[34:35], v[40:41], v[34:35]
	v_fmac_f64_e32 v[34:35], v[32:33], v[30:31]
	v_cndmask_b32_e64 v30, v48, v36, s[24:25]
	v_cmp_eq_u32_e64 s[8:9], 8, v19
	v_cndmask_b32_e64 v31, v49, v37, s[24:25]
	v_accvgpr_write_b32 a6, v30
	v_cndmask_b32_e64 v29, v20, v5, s[8:9]
	v_cndmask_b32_e32 v95, v52, v37, vcc
	v_cndmask_b32_e32 v94, v51, v36, vcc
	v_accvgpr_write_b32 a7, v31
	v_cndmask_b32_e64 v115, v83, v37, s[28:29]
	v_cndmask_b32_e64 v114, v80, v36, s[28:29]
	;; [unrolled: 1-line block ×6, first 2 shown]
	v_cndmask_b32_e32 v85, v62, v39, vcc
	v_cndmask_b32_e32 v84, v61, v38, vcc
	v_cndmask_b32_e64 v197, v64, v39, s[24:25]
	v_cndmask_b32_e64 v196, v63, v38, s[24:25]
	v_cndmask_b32_e64 v181, v88, v39, s[28:29]
	v_cndmask_b32_e64 v180, v86, v38, s[28:29]
	v_cndmask_b32_e64 v185, v89, v39, s[34:35]
	v_cndmask_b32_e64 v184, v87, v38, s[34:35]
	v_cndmask_b32_e64 v255, v45, v39, s[38:39]
	v_cndmask_b32_e64 v254, v44, v38, s[38:39]
	v_cndmask_b32_e32 v119, v96, v35, vcc
	v_cndmask_b32_e32 v118, v90, v34, vcc
	v_cndmask_b32_e64 v229, v75, v35, s[24:25]
	v_cndmask_b32_e64 v228, v70, v34, s[24:25]
	;; [unrolled: 1-line block ×8, first 2 shown]
	v_cmp_eq_u32_e32 vcc, 7, v19
	v_cmp_eq_u32_e64 s[4:5], 6, v19
	v_cmp_eq_u32_e64 s[6:7], 5, v19
	scratch_store_dwordx4 off, v[12:15], off offset:2016 ; 16-byte Folded Spill
	s_nop 0
	scratch_store_dwordx4 off, v[16:19], off offset:2032 ; 16-byte Folded Spill
	scratch_store_dwordx4 off, v[20:23], off offset:2048 ; 16-byte Folded Spill
	;; [unrolled: 1-line block ×7, first 2 shown]
	v_cndmask_b32_e64 v20, v6, v4, s[8:9]
	scratch_store_dwordx4 off, v[4:7], off offset:2144 ; 16-byte Folded Spill
	s_nop 0
	scratch_store_dwordx4 off, v[8:11], off offset:2160 ; 16-byte Folded Spill
	scratch_store_dwordx4 off, v[12:15], off offset:2176 ; 16-byte Folded Spill
	;; [unrolled: 1-line block ×7, first 2 shown]
	v_cndmask_b32_e64 v130, v56, v38, s[6:7]
	v_cndmask_b32_e32 v29, v18, v5, vcc
	v_cndmask_b32_e32 v18, v9, v4, vcc
	v_accvgpr_write_b32 a127, v29
	scratch_store_dwordx4 off, v[4:7], off offset:2272 ; 16-byte Folded Spill
	s_nop 0
	scratch_store_dwordx4 off, v[8:11], off offset:2288 ; 16-byte Folded Spill
	scratch_store_dwordx4 off, v[12:15], off offset:2304 ; 16-byte Folded Spill
	;; [unrolled: 1-line block ×7, first 2 shown]
	v_cndmask_b32_e64 v17, v17, v5, s[4:5]
	v_cndmask_b32_e64 v18, v13, v4, s[4:5]
	v_accvgpr_write_b32 a229, v17
	scratch_store_dwordx4 off, v[6:9], off offset:2400 ; 16-byte Folded Spill
	s_nop 0
	scratch_store_dwordx4 off, v[10:13], off offset:2416 ; 16-byte Folded Spill
	scratch_store_dwordx4 off, v[14:17], off offset:2432 ; 16-byte Folded Spill
	;; [unrolled: 1-line block ×7, first 2 shown]
	v_cndmask_b32_e64 v11, v16, v5, s[6:7]
	v_cndmask_b32_e64 v10, v15, v4, s[6:7]
	v_accvgpr_write_b32 a197, v11
	scratch_store_dwordx4 off, v[0:3], off offset:2528 ; 16-byte Folded Spill
	s_nop 0
	scratch_store_dwordx4 off, v[4:7], off offset:2544 ; 16-byte Folded Spill
	scratch_store_dwordx4 off, v[8:11], off offset:2560 ; 16-byte Folded Spill
	;; [unrolled: 1-line block ×7, first 2 shown]
	v_cndmask_b32_e64 v17, v28, v37, s[8:9]
	scratch_store_dwordx4 off, v[0:3], off offset:1248 ; 16-byte Folded Spill
	s_nop 0
	scratch_store_dwordx4 off, v[4:7], off offset:1264 ; 16-byte Folded Spill
	scratch_store_dwordx4 off, v[8:11], off offset:1280 ; 16-byte Folded Spill
	;; [unrolled: 1-line block ×7, first 2 shown]
	v_cndmask_b32_e64 v16, v24, v36, s[8:9]
	v_cndmask_b32_e32 v15, v27, v37, vcc
	v_accvgpr_write_b32 a32, v16
	scratch_store_dwordx4 off, v[0:3], off offset:1632 ; 16-byte Folded Spill
	s_nop 0
	scratch_store_dwordx4 off, v[4:7], off offset:1648 ; 16-byte Folded Spill
	scratch_store_dwordx4 off, v[8:11], off offset:1664 ; 16-byte Folded Spill
	;; [unrolled: 1-line block ×7, first 2 shown]
	v_cndmask_b32_e32 v16, v23, v36, vcc
	v_cndmask_b32_e64 v13, v26, v37, s[4:5]
	v_accvgpr_write_b32 a64, v16
	scratch_store_dwordx4 off, v[0:3], off offset:1760 ; 16-byte Folded Spill
	s_nop 0
	scratch_store_dwordx4 off, v[4:7], off offset:1776 ; 16-byte Folded Spill
	scratch_store_dwordx4 off, v[8:11], off offset:1792 ; 16-byte Folded Spill
	scratch_store_dwordx4 off, v[12:15], off offset:1808 ; 16-byte Folded Spill
	scratch_store_dwordx4 off, v[16:19], off offset:1824 ; 16-byte Folded Spill
	scratch_store_dwordx4 off, v[20:23], off offset:1840 ; 16-byte Folded Spill
	scratch_store_dwordx4 off, v[24:27], off offset:1856 ; 16-byte Folded Spill
	scratch_store_dwordx4 off, v[28:31], off offset:1872 ; 16-byte Folded Spill
	v_cndmask_b32_e64 v16, v22, v36, s[4:5]
	scratch_store_dwordx4 off, v[4:7], off offset:1376 ; 16-byte Folded Spill
	s_nop 0
	scratch_store_dwordx4 off, v[8:11], off offset:1392 ; 16-byte Folded Spill
	scratch_store_dwordx4 off, v[12:15], off offset:1408 ; 16-byte Folded Spill
	scratch_store_dwordx4 off, v[16:19], off offset:1424 ; 16-byte Folded Spill
	scratch_store_dwordx4 off, v[20:23], off offset:1440 ; 16-byte Folded Spill
	scratch_store_dwordx4 off, v[24:27], off offset:1456 ; 16-byte Folded Spill
	scratch_store_dwordx4 off, v[28:31], off offset:1472 ; 16-byte Folded Spill
	scratch_store_dwordx4 off, v[32:35], off offset:1488 ; 16-byte Folded Spill
	v_cndmask_b32_e64 v13, v25, v37, s[6:7]
	;; [unrolled: 10-line block ×5, first 2 shown]
	scratch_store_dwordx4 off, v[0:3], off offset:480 ; 16-byte Folded Spill
	s_nop 0
	scratch_store_dwordx4 off, v[4:7], off offset:496 ; 16-byte Folded Spill
	scratch_store_dwordx4 off, v[8:11], off offset:512 ; 16-byte Folded Spill
	;; [unrolled: 1-line block ×7, first 2 shown]
	v_cndmask_b32_e32 v15, v58, v39, vcc
	scratch_store_dwordx4 off, v[0:3], off offset:992 ; 16-byte Folded Spill
	s_nop 0
	scratch_store_dwordx4 off, v[4:7], off offset:1008 ; 16-byte Folded Spill
	scratch_store_dwordx4 off, v[8:11], off offset:1024 ; 16-byte Folded Spill
	;; [unrolled: 1-line block ×7, first 2 shown]
	v_cndmask_b32_e32 v16, v54, v38, vcc
	scratch_store_dwordx4 off, v[2:5], off offset:864 ; 16-byte Folded Spill
	s_nop 0
	scratch_store_dwordx4 off, v[6:9], off offset:880 ; 16-byte Folded Spill
	scratch_store_dwordx4 off, v[10:13], off offset:896 ; 16-byte Folded Spill
	scratch_store_dwordx4 off, v[14:17], off offset:912 ; 16-byte Folded Spill
	scratch_store_dwordx4 off, v[18:21], off offset:928 ; 16-byte Folded Spill
	scratch_store_dwordx4 off, v[22:25], off offset:944 ; 16-byte Folded Spill
	scratch_store_dwordx4 off, v[26:29], off offset:960 ; 16-byte Folded Spill
	scratch_store_dwordx4 off, v[30:33], off offset:976 ; 16-byte Folded Spill
	v_cndmask_b32_e64 v13, v59, v39, s[4:5]
	scratch_store_dwordx4 off, v[0:3], off offset:736 ; 16-byte Folded Spill
	s_nop 0
	scratch_store_dwordx4 off, v[4:7], off offset:752 ; 16-byte Folded Spill
	scratch_store_dwordx4 off, v[8:11], off offset:768 ; 16-byte Folded Spill
	scratch_store_dwordx4 off, v[12:15], off offset:784 ; 16-byte Folded Spill
	scratch_store_dwordx4 off, v[16:19], off offset:800 ; 16-byte Folded Spill
	scratch_store_dwordx4 off, v[20:23], off offset:816 ; 16-byte Folded Spill
	scratch_store_dwordx4 off, v[24:27], off offset:832 ; 16-byte Folded Spill
	scratch_store_dwordx4 off, v[28:31], off offset:848 ; 16-byte Folded Spill
	v_cndmask_b32_e64 v16, v55, v38, s[4:5]
	;; [unrolled: 10-line block ×4, first 2 shown]
	v_cndmask_b32_e64 v16, v65, v34, s[8:9]
	v_accvgpr_write_b32 a49, v17
	scratch_store_dwordx4 off, v[0:3], off offset:2656 ; 16-byte Folded Spill
	s_nop 0
	scratch_store_dwordx4 off, v[4:7], off offset:2672 ; 16-byte Folded Spill
	scratch_store_dwordx4 off, v[8:11], off offset:2688 ; 16-byte Folded Spill
	;; [unrolled: 1-line block ×7, first 2 shown]
	v_cndmask_b32_e32 v15, v69, v35, vcc
	v_accvgpr_write_b32 a159, v15
	v_cndmask_b32_e64 v152, v67, v34, s[6:7]
	v_cndmask_b32_e64 v13, v12, v35, s[4:5]
	v_cndmask_b32_e32 v14, v14, v34, vcc
	v_accvgpr_write_b32 a173, v13
	v_cndmask_b32_e64 v12, v66, v34, s[4:5]
	v_cndmask_b32_e64 v13, v71, v35, s[6:7]
	v_accvgpr_write_b32 a96, v14
	v_accvgpr_write_b32 a110, v12
	v_accvgpr_write_b32 a185, v13
.LBB4_26:
	s_or_b64 exec, exec, s[52:53]
	s_mov_b64 s[4:5], 0
	scratch_store_dword off, v8, off offset:80
	s_mov_b64 s[16:17], exec
	v_accvgpr_read_b32 v121, a7
	s_and_b64 s[0:1], s[16:17], s[0:1]
	v_mov_b32_e32 v16, v74
	v_accvgpr_read_b32 v120, a6
	v_accvgpr_read_b32 v90, a64
	s_mov_b64 exec, s[0:1]
	s_cbranch_execz .LBB4_36
; %bb.27:
	s_mov_b64 s[18:19], 0
	v_cmp_gt_f64_e32 vcc, 0, v[104:105]
	s_branch .LBB4_29
.LBB4_28:                               ;   in Loop: Header=BB4_29 Depth=1
	s_or_b64 exec, exec, s[0:1]
	s_waitcnt vmcnt(0)
	v_cmp_gt_i32_e64 s[0:1], 0, v2
	s_or_b64 s[18:19], s[0:1], s[18:19]
	v_mov_b32_e32 v101, v2
	s_andn2_b64 exec, exec, s[18:19]
	s_cbranch_execz .LBB4_35
.LBB4_29:                               ; =>This Inner Loop Header: Depth=1
	scratch_load_dwordx4 v[20:23], off, off offset:224 ; 16-byte Folded Reload
	scratch_load_dwordx4 v[24:27], off, off offset:240 ; 16-byte Folded Reload
	;; [unrolled: 1-line block ×8, first 2 shown]
	v_cmp_eq_u32_e64 s[0:1], 1, v101
	v_cmp_eq_u32_e64 s[4:5], 2, v101
	;; [unrolled: 1-line block ×3, first 2 shown]
	v_cndmask_b32_e64 v2, v113, v111, s[0:1]
	v_cndmask_b32_e64 v3, v112, v110, s[0:1]
	v_cndmask_b32_e64 v2, v2, v109, s[4:5]
	v_cndmask_b32_e64 v3, v3, v108, s[4:5]
	v_cmp_eq_u32_e64 s[8:9], 4, v101
	v_cmp_eq_u32_e64 s[10:11], 5, v101
	;; [unrolled: 1-line block ×4, first 2 shown]
	v_accvgpr_read_b32 v11, a197
	v_accvgpr_read_b32 v13, a229
	;; [unrolled: 1-line block ×3, first 2 shown]
	v_cmp_eq_u32_e64 s[0:1], 8, v101
	s_mov_b64 s[4:5], 0
	s_waitcnt vmcnt(6)
	v_mov_b64_e32 v[8:9], v[26:27]
	scratch_load_dwordx4 v[20:23], off, off offset:96 ; 16-byte Folded Reload
	scratch_load_dwordx4 v[24:27], off, off offset:112 ; 16-byte Folded Reload
	;; [unrolled: 1-line block ×8, first 2 shown]
	v_cndmask_b32_e64 v2, v2, v9, s[6:7]
	v_cndmask_b32_e64 v3, v3, v8, s[6:7]
	s_waitcnt vmcnt(5)
	v_mov_b64_e32 v[20:21], v[28:29]
	v_cndmask_b32_e64 v2, v2, v21, s[8:9]
	v_cndmask_b32_e64 v3, v3, v20, s[8:9]
	scratch_load_dwordx4 v[20:23], off, off offset:2528 ; 16-byte Folded Reload
	scratch_load_dwordx4 v[24:27], off, off offset:2544 ; 16-byte Folded Reload
	;; [unrolled: 1-line block ×8, first 2 shown]
	v_cndmask_b32_e64 v2, v2, v11, s[10:11]
	v_cndmask_b32_e64 v2, v2, v13, s[12:13]
	;; [unrolled: 1-line block ×3, first 2 shown]
	s_waitcnt vmcnt(5)
	v_cndmask_b32_e64 v3, v3, v30, s[10:11]
	scratch_load_dwordx4 v[20:23], off, off offset:2400 ; 16-byte Folded Reload
	scratch_load_dwordx4 v[24:27], off, off offset:2416 ; 16-byte Folded Reload
	scratch_load_dwordx4 v[28:31], off, off offset:2432 ; 16-byte Folded Reload
	scratch_load_dwordx4 v[32:35], off, off offset:2448 ; 16-byte Folded Reload
	scratch_load_dwordx4 v[36:39], off, off offset:2464 ; 16-byte Folded Reload
	scratch_load_dwordx4 v[40:43], off, off offset:2480 ; 16-byte Folded Reload
	scratch_load_dwordx4 v[44:47], off, off offset:2496 ; 16-byte Folded Reload
	scratch_load_dwordx4 v[48:51], off, off offset:2512 ; 16-byte Folded Reload
	s_waitcnt vmcnt(4)
	v_cndmask_b32_e64 v3, v3, v32, s[12:13]
	scratch_load_dwordx4 v[20:23], off, off offset:2272 ; 16-byte Folded Reload
	scratch_load_dwordx4 v[24:27], off, off offset:2288 ; 16-byte Folded Reload
	scratch_load_dwordx4 v[28:31], off, off offset:2304 ; 16-byte Folded Reload
	scratch_load_dwordx4 v[32:35], off, off offset:2320 ; 16-byte Folded Reload
	scratch_load_dwordx4 v[36:39], off, off offset:2336 ; 16-byte Folded Reload
	scratch_load_dwordx4 v[40:43], off, off offset:2352 ; 16-byte Folded Reload
	scratch_load_dwordx4 v[44:47], off, off offset:2368 ; 16-byte Folded Reload
	scratch_load_dwordx4 v[48:51], off, off offset:2384 ; 16-byte Folded Reload
	;; [unrolled: 10-line block ×4, first 2 shown]
	s_waitcnt vmcnt(3)
	v_cndmask_b32_e64 v2, v4, v36, s[0:1]
	v_lshl_add_u32 v4, v101, 2, v16
	v_cmp_ngt_f64_e64 s[0:1], 0, v[2:3]
	scratch_load_dword v2, v4, off
                                        ; implicit-def: $vgpr3
	s_and_saveexec_b64 s[6:7], s[0:1]
	s_xor_b64 s[6:7], exec, s[6:7]
	s_cbranch_execz .LBB4_31
; %bb.30:                               ;   in Loop: Header=BB4_29 Depth=1
	scratch_load_dword v3, off, off offset:80
                                        ; implicit-def: $vgpr4
	s_waitcnt vmcnt(0)
	v_cmp_eq_u32_e64 s[0:1], -1, v3
	v_mov_b32_e32 v3, 0x50
	s_and_b64 s[4:5], s[0:1], exec
.LBB4_31:                               ;   in Loop: Header=BB4_29 Depth=1
	s_andn2_saveexec_b64 s[0:1], s[6:7]
	s_cbranch_execz .LBB4_33
; %bb.32:                               ;   in Loop: Header=BB4_29 Depth=1
	scratch_load_dword v5, off, off offset:84
	v_mov_b32_e32 v3, 0x54
	s_or_b64 s[4:5], s[4:5], exec
	s_waitcnt vmcnt(0)
	scratch_store_dword v4, v5, off
.LBB4_33:                               ;   in Loop: Header=BB4_29 Depth=1
	s_or_b64 exec, exec, s[0:1]
	s_mov_b64 s[0:1], exec
	v_accvgpr_read_b32 v121, a7
	s_and_b64 s[4:5], s[0:1], s[4:5]
	v_accvgpr_read_b32 v120, a6
	v_accvgpr_read_b32 v90, a64
	s_mov_b64 exec, s[4:5]
	s_cbranch_execz .LBB4_28
; %bb.34:                               ;   in Loop: Header=BB4_29 Depth=1
	scratch_store_dword v3, v101, off
	s_branch .LBB4_28
.LBB4_35:
	s_or_b64 exec, exec, s[18:19]
	s_and_b64 s[4:5], vcc, exec
.LBB4_36:
	s_or_b64 exec, exec, s[16:17]
	s_and_saveexec_b64 s[0:1], s[2:3]
	s_cbranch_execz .LBB4_38
; %bb.37:
	v_lshlrev_b32_e32 v2, 2, v102
	v_mov_b32_e32 v3, 0
	v_cmp_gt_f64_e32 vcc, 0, v[0:1]
	v_add3_u32 v2, v3, v2, 40
	v_lshlrev_b32_e32 v4, 2, v7
	s_or_b64 s[2:3], vcc, s[4:5]
	v_lshlrev_b32_e32 v1, 2, v19
	v_add3_u32 v4, v3, v4, 40
	v_cndmask_b32_e64 v0, v100, -1, s[2:3]
	v_add3_u32 v1, v3, v1, 40
	scratch_store_dword v2, v7, off
	scratch_store_dword v4, v19, off
	;; [unrolled: 1-line block ×3, first 2 shown]
.LBB4_38:
	s_or_b64 exec, exec, s[0:1]
	scratch_load_dword v10, off, off offset:80
	scratch_load_dwordx4 v[18:21], off, off offset:1888 ; 16-byte Folded Reload
	scratch_load_dwordx4 v[22:25], off, off offset:1904 ; 16-byte Folded Reload
	;; [unrolled: 1-line block ×8, first 2 shown]
	v_mov_b64_e32 v[4:5], -1
	v_mov_b32_e32 v11, -1
	v_mov_b32_e32 v12, -1
	v_mov_b64_e32 v[6:7], v[4:5]
	s_waitcnt vmcnt(8)
	v_cmp_eq_u32_e32 vcc, 1, v10
	s_nop 1
	v_cndmask_b32_e32 v0, v179, v117, vcc
	v_cmp_eq_u32_e64 s[0:1], 2, v10
	v_cmp_eq_u32_e64 s[2:3], 3, v10
	v_cndmask_b32_e32 v1, v178, v116, vcc
	v_cndmask_b32_e64 v0, v0, v115, s[0:1]
	v_cndmask_b32_e64 v0, v0, v121, s[2:3]
	v_cmp_eq_u32_e32 vcc, 4, v10
	v_cndmask_b32_e64 v1, v1, v114, s[0:1]
	v_cmp_eq_u32_e64 s[0:1], 5, v10
	v_cndmask_b32_e32 v0, v0, v95, vcc
	v_cndmask_b32_e64 v1, v1, v120, s[2:3]
	s_waitcnt vmcnt(5)
	v_cndmask_b32_e64 v0, v0, v29, s[0:1]
	scratch_load_dwordx4 v[18:21], off, off offset:1760 ; 16-byte Folded Reload
	scratch_load_dwordx4 v[22:25], off, off offset:1776 ; 16-byte Folded Reload
	;; [unrolled: 1-line block ×8, first 2 shown]
	v_cndmask_b32_e32 v1, v1, v94, vcc
	v_cmp_eq_u32_e32 vcc, 6, v10
	s_waitcnt vmcnt(4)
	s_nop 0
	v_cndmask_b32_e32 v0, v0, v31, vcc
	scratch_load_dwordx4 v[18:21], off, off offset:1504 ; 16-byte Folded Reload
	scratch_load_dwordx4 v[22:25], off, off offset:1520 ; 16-byte Folded Reload
	;; [unrolled: 1-line block ×8, first 2 shown]
	s_waitcnt vmcnt(5)
	v_cndmask_b32_e64 v1, v1, v28, s[0:1]
	scratch_load_dwordx4 v[18:21], off, off offset:1632 ; 16-byte Folded Reload
	scratch_load_dwordx4 v[22:25], off, off offset:1648 ; 16-byte Folded Reload
	;; [unrolled: 1-line block ×8, first 2 shown]
	v_cmp_eq_u32_e64 s[0:1], 7, v10
	s_waitcnt vmcnt(4)
	s_nop 0
	v_cndmask_b32_e64 v0, v0, v33, s[0:1]
	scratch_load_dwordx4 v[18:21], off, off offset:1376 ; 16-byte Folded Reload
	scratch_load_dwordx4 v[22:25], off, off offset:1392 ; 16-byte Folded Reload
	;; [unrolled: 1-line block ×8, first 2 shown]
	s_waitcnt vmcnt(4)
	v_cndmask_b32_e32 v1, v1, v30, vcc
	scratch_load_dwordx4 v[18:21], off, off offset:1248 ; 16-byte Folded Reload
	scratch_load_dwordx4 v[22:25], off, off offset:1264 ; 16-byte Folded Reload
	;; [unrolled: 1-line block ×8, first 2 shown]
	v_cndmask_b32_e64 v2, v1, v90, s[0:1]
	v_cmp_eq_u32_e32 vcc, 8, v10
	s_waitcnt vmcnt(7)
	v_accvgpr_read_b32 v18, a32
	v_cmp_lt_i32_e64 s[0:1], -1, v10
	s_waitcnt vmcnt(3)
	v_cndmask_b32_e32 v1, v0, v35, vcc
	v_cndmask_b32_e32 v0, v2, v18, vcc
	v_mov_b64_e32 v[2:3], 0
	s_and_saveexec_b64 s[10:11], s[0:1]
	s_cbranch_execz .LBB4_42
; %bb.39:
	scratch_load_dwordx4 v[18:21], off, off offset:1248 ; 16-byte Folded Reload
	scratch_load_dwordx4 v[22:25], off, off offset:1264 ; 16-byte Folded Reload
	;; [unrolled: 1-line block ×8, first 2 shown]
	s_mov_b64 s[12:13], 0
	v_mov_b32_e32 v11, -1
	v_mov_b32_e32 v5, v10
	v_mov_b32_e32 v4, -1
	v_mov_b32_e32 v6, -1
	v_mov_b32_e32 v12, -1
	v_mov_b64_e32 v[8:9], v[0:1]
	s_waitcnt vmcnt(7)
	v_accvgpr_read_b32 v18, a32
	s_waitcnt vmcnt(3)
	v_mov_b32_e32 v19, v35
	scratch_load_dwordx4 v[20:23], off, off offset:1632 ; 16-byte Folded Reload
	scratch_load_dwordx4 v[24:27], off, off offset:1648 ; 16-byte Folded Reload
	scratch_load_dwordx4 v[28:31], off, off offset:1664 ; 16-byte Folded Reload
	scratch_load_dwordx4 v[32:35], off, off offset:1680 ; 16-byte Folded Reload
	scratch_load_dwordx4 v[36:39], off, off offset:1696 ; 16-byte Folded Reload
	scratch_load_dwordx4 v[40:43], off, off offset:1712 ; 16-byte Folded Reload
	scratch_load_dwordx4 v[44:47], off, off offset:1728 ; 16-byte Folded Reload
	scratch_load_dwordx4 v[48:51], off, off offset:1744 ; 16-byte Folded Reload
	s_waitcnt vmcnt(4)
	v_mov_b32_e32 v15, v35
	scratch_load_dwordx4 v[20:23], off, off offset:1760 ; 16-byte Folded Reload
	scratch_load_dwordx4 v[24:27], off, off offset:1776 ; 16-byte Folded Reload
	scratch_load_dwordx4 v[28:31], off, off offset:1792 ; 16-byte Folded Reload
	scratch_load_dwordx4 v[32:35], off, off offset:1808 ; 16-byte Folded Reload
	scratch_load_dwordx4 v[36:39], off, off offset:1824 ; 16-byte Folded Reload
	scratch_load_dwordx4 v[40:43], off, off offset:1840 ; 16-byte Folded Reload
	scratch_load_dwordx4 v[44:47], off, off offset:1856 ; 16-byte Folded Reload
	scratch_load_dwordx4 v[48:51], off, off offset:1872 ; 16-byte Folded Reload
	;; [unrolled: 10-line block ×5, first 2 shown]
	s_waitcnt vmcnt(5)
	v_mov_b32_e32 v20, v34
.LBB4_40:                               ; =>This Inner Loop Header: Depth=1
	v_lshl_add_u32 v2, v5, 2, v16
	scratch_load_dword v7, v2, off
	s_waitcnt vmcnt(0)
	v_cmp_gt_i32_e32 vcc, 0, v7
	s_nop 1
	v_cndmask_b32_e32 v13, v7, v10, vcc
	v_cmp_eq_u32_e64 s[2:3], 1, v13
	v_cmp_eq_u32_e64 s[4:5], 2, v13
	;; [unrolled: 1-line block ×3, first 2 shown]
	v_cndmask_b32_e64 v2, v179, v117, s[2:3]
	v_cndmask_b32_e64 v3, v178, v116, s[2:3]
	;; [unrolled: 1-line block ×5, first 2 shown]
	v_cmp_eq_u32_e64 s[2:3], 4, v13
	v_cndmask_b32_e64 v3, v3, v120, s[6:7]
	v_cmp_eq_u32_e64 s[4:5], 5, v13
	v_cndmask_b32_e64 v2, v2, v95, s[2:3]
	v_cndmask_b32_e64 v3, v3, v94, s[2:3]
	;; [unrolled: 1-line block ×3, first 2 shown]
	v_cmp_eq_u32_e64 s[2:3], 6, v13
	v_cndmask_b32_e64 v3, v3, v20, s[4:5]
	v_cmp_eq_u32_e64 s[4:5], 7, v13
	v_cndmask_b32_e64 v2, v2, v21, s[2:3]
	v_cndmask_b32_e64 v3, v3, v14, s[2:3]
	;; [unrolled: 1-line block ×4, first 2 shown]
	v_cmp_eq_u32_e64 s[2:3], 8, v13
	s_nop 1
	v_cndmask_b32_e64 v17, v2, v19, s[2:3]
	v_cndmask_b32_e64 v16, v3, v18, s[2:3]
	v_mov_b64_e32 v[2:3], v[8:9]
	v_cmp_le_f64_e64 s[2:3], 0, v[2:3]
	v_cmp_gt_f64_e64 s[4:5], 0, v[2:3]
	v_cmp_gt_f64_e64 s[6:7], 0, v[16:17]
	v_cmp_le_f64_e64 s[8:9], 0, v[16:17]
	s_and_b64 s[2:3], s[2:3], s[6:7]
	s_and_b64 s[4:5], s[4:5], s[8:9]
	v_cndmask_b32_e64 v6, v6, v13, s[2:3]
	v_cndmask_b32_e64 v12, v12, v13, s[4:5]
	;; [unrolled: 1-line block ×4, first 2 shown]
	s_or_b64 s[12:13], vcc, s[12:13]
	v_mov_b32_e32 v5, v7
	v_mov_b64_e32 v[8:9], v[16:17]
	v_mov_b32_e32 v16, v74
	s_andn2_b64 exec, exec, s[12:13]
	s_cbranch_execnz .LBB4_40
; %bb.41:
	s_or_b64 exec, exec, s[12:13]
.LBB4_42:
	s_or_b64 exec, exec, s[10:11]
	v_cmp_lt_i32_e64 s[2:3], -1, v11
	v_mov_b32_e32 v7, -1
	v_mov_b32_e32 v5, -1
	v_mov_b32_e32 v8, -1
	s_and_saveexec_b64 s[52:53], s[2:3]
	s_cbranch_execz .LBB4_44
; %bb.43:
	scratch_load_dwordx4 v[42:45], off, off offset:1888 ; 16-byte Folded Reload
	scratch_load_dwordx4 v[46:49], off, off offset:1904 ; 16-byte Folded Reload
	;; [unrolled: 1-line block ×16, first 2 shown]
	v_cmp_eq_u32_e64 s[4:5], 1, v6
	v_cmp_eq_u32_e64 s[6:7], 2, v6
	;; [unrolled: 1-line block ×3, first 2 shown]
	v_cndmask_b32_e64 v5, v179, v117, s[4:5]
	v_cmp_eq_u32_e64 s[10:11], 4, v6
	v_cmp_eq_u32_e64 s[12:13], 5, v6
	v_cmp_eq_u32_e64 s[14:15], 6, v6
	v_cmp_eq_u32_e64 s[16:17], 7, v6
	v_cmp_eq_u32_e64 s[18:19], 8, v6
	v_cndmask_b32_e64 v6, v178, v116, s[4:5]
	v_cndmask_b32_e64 v5, v5, v115, s[6:7]
	;; [unrolled: 1-line block ×7, first 2 shown]
	v_cmp_eq_u32_e64 s[20:21], 1, v11
	v_cmp_eq_u32_e64 s[22:23], 2, v11
	;; [unrolled: 1-line block ×8, first 2 shown]
	s_waitcnt vmcnt(8)
	v_accvgpr_read_b32 v71, a185
	v_accvgpr_read_b32 v69, a173
	v_cndmask_b32_e64 v5, v5, v53, s[12:13]
	s_waitcnt vmcnt(4)
	v_mov_b32_e32 v51, v27
	scratch_load_dwordx4 v[14:17], off, off offset:1632 ; 16-byte Folded Reload
	scratch_load_dwordx4 v[18:21], off, off offset:1648 ; 16-byte Folded Reload
	;; [unrolled: 1-line block ×16, first 2 shown]
	v_cndmask_b32_e64 v5, v5, v51, s[14:15]
	s_waitcnt vmcnt(9)
	v_accvgpr_read_b32 v38, a32
	v_accvgpr_read_b32 v41, a197
	v_accvgpr_read_b32 v37, a229
	v_accvgpr_read_b32 v33, a127
	s_waitcnt vmcnt(8)
	v_mov_b32_e32 v43, v29
	s_waitcnt vmcnt(5)
	v_accvgpr_read_b32 v32, a10
	scratch_load_dwordx4 a[0:3], off, off offset:1376 ; 16-byte Folded Reload
	scratch_load_dwordx4 a[4:7], off, off offset:1392 ; 16-byte Folded Reload
	;; [unrolled: 1-line block ×8, first 2 shown]
	v_cndmask_b32_e64 v6, v6, v32, s[12:13]
	v_cndmask_b32_e64 v5, v5, v43, s[16:17]
	s_waitcnt vmcnt(4)
	v_accvgpr_read_b32 v14, a12
	scratch_load_dwordx4 a[0:3], off, off offset:1248 ; 16-byte Folded Reload
	scratch_load_dwordx4 a[4:7], off, off offset:1264 ; 16-byte Folded Reload
	;; [unrolled: 1-line block ×8, first 2 shown]
	v_cndmask_b32_e64 v6, v6, v14, s[14:15]
	v_cndmask_b32_e64 v6, v6, v90, s[16:17]
	;; [unrolled: 1-line block ×13, first 2 shown]
	s_waitcnt vmcnt(3)
	v_accvgpr_read_b32 v39, a17
	scratch_load_dwordx4 a[0:3], off, off offset:224 ; 16-byte Folded Reload
	scratch_load_dwordx4 a[4:7], off, off offset:240 ; 16-byte Folded Reload
	;; [unrolled: 1-line block ×8, first 2 shown]
	v_cndmask_b32_e64 v21, v5, v39, s[18:19]
	v_cndmask_b32_e64 v5, v179, v117, s[20:21]
	;; [unrolled: 1-line block ×9, first 2 shown]
	v_add_f64 v[8:9], -v[20:21], 0
	v_add_f64 v[16:17], v[22:23], -v[20:21]
	v_div_scale_f64 v[18:19], s[38:39], v[16:17], v[16:17], v[8:9]
	v_rcp_f64_e32 v[24:25], v[18:19]
	v_cndmask_b32_e64 v5, v113, v111, s[20:21]
	v_cndmask_b32_e64 v5, v5, v109, s[22:23]
	v_fma_f64 v[26:27], -v[18:19], v[24:25], 1.0
	v_fmac_f64_e32 v[24:25], v[24:25], v[26:27]
	v_fma_f64 v[26:27], -v[18:19], v[24:25], 1.0
	v_fmac_f64_e32 v[24:25], v[24:25], v[26:27]
	v_div_scale_f64 v[26:27], vcc, v[8:9], v[16:17], v[8:9]
	v_mul_f64 v[28:29], v[26:27], v[24:25]
	v_fma_f64 v[18:19], -v[18:19], v[28:29], v[26:27]
	s_nop 1
	v_div_fmas_f64 v[18:19], v[18:19], v[24:25], v[28:29]
	v_div_fixup_f64 v[28:29], v[18:19], v[16:17], v[8:9]
	v_add_f64 v[30:31], -v[28:29], 1.0
	s_waitcnt vmcnt(6)
	v_accvgpr_read_b32 v25, a7
	v_accvgpr_read_b32 v24, a6
	scratch_load_dwordx4 a[0:3], off, off offset:96 ; 16-byte Folded Reload
	scratch_load_dwordx4 a[4:7], off, off offset:112 ; 16-byte Folded Reload
	;; [unrolled: 1-line block ×8, first 2 shown]
	v_cndmask_b32_e64 v5, v5, v25, s[24:25]
	v_cndmask_b32_e64 v6, v6, v24, s[24:25]
	s_waitcnt vmcnt(5)
	v_accvgpr_read_b32 v27, a9
	v_accvgpr_read_b32 v26, a8
	scratch_load_dwordx4 a[0:3], off, off offset:2528 ; 16-byte Folded Reload
	scratch_load_dwordx4 a[4:7], off, off offset:2544 ; 16-byte Folded Reload
	;; [unrolled: 1-line block ×8, first 2 shown]
	v_cndmask_b32_e64 v5, v5, v27, s[26:27]
	v_cndmask_b32_e64 v5, v5, v41, s[28:29]
	;; [unrolled: 1-line block ×5, first 2 shown]
	s_waitcnt vmcnt(5)
	v_accvgpr_read_b32 v42, a10
	scratch_load_dwordx4 a[0:3], off, off offset:2400 ; 16-byte Folded Reload
	scratch_load_dwordx4 a[4:7], off, off offset:2416 ; 16-byte Folded Reload
	scratch_load_dwordx4 a[8:11], off, off offset:2432 ; 16-byte Folded Reload
	scratch_load_dwordx4 a[12:15], off, off offset:2448 ; 16-byte Folded Reload
	scratch_load_dwordx4 a[16:19], off, off offset:2464 ; 16-byte Folded Reload
	scratch_load_dwordx4 a[20:23], off, off offset:2480 ; 16-byte Folded Reload
	scratch_load_dwordx4 a[24:27], off, off offset:2496 ; 16-byte Folded Reload
	scratch_load_dwordx4 a[28:31], off, off offset:2512 ; 16-byte Folded Reload
	v_cndmask_b32_e64 v6, v6, v42, s[28:29]
	s_waitcnt vmcnt(4)
	v_accvgpr_read_b32 v40, a12
	scratch_load_dwordx4 a[0:3], off, off offset:2272 ; 16-byte Folded Reload
	scratch_load_dwordx4 a[4:7], off, off offset:2288 ; 16-byte Folded Reload
	scratch_load_dwordx4 a[8:11], off, off offset:2304 ; 16-byte Folded Reload
	scratch_load_dwordx4 a[12:15], off, off offset:2320 ; 16-byte Folded Reload
	scratch_load_dwordx4 a[16:19], off, off offset:2336 ; 16-byte Folded Reload
	scratch_load_dwordx4 a[20:23], off, off offset:2352 ; 16-byte Folded Reload
	scratch_load_dwordx4 a[24:27], off, off offset:2368 ; 16-byte Folded Reload
	scratch_load_dwordx4 a[28:31], off, off offset:2384 ; 16-byte Folded Reload
	v_cndmask_b32_e64 v6, v6, v40, s[30:31]
	s_waitcnt vmcnt(4)
	v_accvgpr_read_b32 v36, a14
	scratch_load_dwordx4 a[0:3], off, off offset:2016 ; 16-byte Folded Reload
	scratch_load_dwordx4 a[4:7], off, off offset:2032 ; 16-byte Folded Reload
	scratch_load_dwordx4 a[8:11], off, off offset:2048 ; 16-byte Folded Reload
	scratch_load_dwordx4 a[12:15], off, off offset:2064 ; 16-byte Folded Reload
	scratch_load_dwordx4 a[16:19], off, off offset:2080 ; 16-byte Folded Reload
	scratch_load_dwordx4 a[20:23], off, off offset:2096 ; 16-byte Folded Reload
	scratch_load_dwordx4 a[24:27], off, off offset:2112 ; 16-byte Folded Reload
	scratch_load_dwordx4 a[28:31], off, off offset:2128 ; 16-byte Folded Reload
	v_cndmask_b32_e64 v6, v6, v36, s[34:35]
	s_waitcnt vmcnt(3)
	v_accvgpr_read_b32 v19, a17
	scratch_load_dwordx4 a[0:3], off, off offset:2144 ; 16-byte Folded Reload
	scratch_load_dwordx4 a[4:7], off, off offset:2160 ; 16-byte Folded Reload
	scratch_load_dwordx4 a[8:11], off, off offset:2176 ; 16-byte Folded Reload
	scratch_load_dwordx4 a[12:15], off, off offset:2192 ; 16-byte Folded Reload
	scratch_load_dwordx4 a[16:19], off, off offset:2208 ; 16-byte Folded Reload
	scratch_load_dwordx4 a[20:23], off, off offset:2224 ; 16-byte Folded Reload
	scratch_load_dwordx4 a[24:27], off, off offset:2240 ; 16-byte Folded Reload
	scratch_load_dwordx4 a[28:31], off, off offset:2256 ; 16-byte Folded Reload
	v_cndmask_b32_e64 v9, v5, v19, s[36:37]
	v_cndmask_b32_e64 v5, v113, v111, s[4:5]
	v_cndmask_b32_e64 v5, v5, v109, s[6:7]
	;; [unrolled: 1-line block ×8, first 2 shown]
	scratch_load_dword v5, off, off offset:84
	s_waitcnt vmcnt(4)
	v_accvgpr_read_b32 v18, a16
	scratch_load_dwordx4 a[0:3], off, off offset:1120 ; 16-byte Folded Reload
	scratch_load_dwordx4 a[4:7], off, off offset:1136 ; 16-byte Folded Reload
	;; [unrolled: 1-line block ×8, first 2 shown]
	v_cndmask_b32_e64 v8, v6, v18, s[36:37]
	v_cndmask_b32_e64 v6, v112, v110, s[4:5]
	v_cndmask_b32_e64 v6, v6, v108, s[6:7]
	v_cndmask_b32_e64 v6, v6, v24, s[8:9]
	v_cndmask_b32_e64 v6, v6, v26, s[10:11]
	v_cndmask_b32_e64 v6, v6, v42, s[12:13]
	v_cndmask_b32_e64 v6, v6, v40, s[14:15]
	v_cndmask_b32_e64 v6, v6, v36, s[16:17]
	v_cndmask_b32_e64 v16, v6, v18, s[18:19]
	v_mul_f64 v[34:35], v[16:17], v[30:31]
	v_fmac_f64_e32 v[34:35], v[8:9], v[28:29]
	v_cndmask_b32_e64 v8, v255, v185, s[20:21]
	v_cndmask_b32_e64 v8, v8, v181, s[22:23]
	;; [unrolled: 1-line block ×4, first 2 shown]
	s_waitcnt vmcnt(8)
	v_cmp_eq_u32_e64 s[42:43], 7, v5
	v_cmp_eq_u32_e64 s[44:45], 6, v5
	;; [unrolled: 1-line block ×3, first 2 shown]
	v_cndmask_b32_e64 v9, v36, v34, s[42:43]
	v_cndmask_b32_e64 v17, v37, v35, s[44:45]
	v_mul_f64 v[36:37], v[20:21], v[30:31]
	v_cmp_eq_u32_e64 s[46:47], 5, v5
	v_cmp_eq_u32_e32 vcc, 4, v5
	v_fmac_f64_e32 v[36:37], v[22:23], v[28:29]
	v_cndmask_b32_e64 v15, v42, v34, s[46:47]
	v_cndmask_b32_e32 v45, v27, v35, vcc
	v_cndmask_b32_e64 v27, v39, v37, s[40:41]
	v_cndmask_b32_e64 v42, v254, v184, s[4:5]
	;; [unrolled: 1-line block ×12, first 2 shown]
	v_cndmask_b32_e32 v44, v26, v34, vcc
	v_cndmask_b32_e64 v26, v43, v37, s[42:43]
	v_cmp_eq_u32_e64 s[38:39], 3, v5
	v_cndmask_b32_e64 v22, v90, v36, s[42:43]
	v_cndmask_b32_e32 v50, v94, v36, vcc
	v_cndmask_b32_e64 v47, v25, v35, s[38:39]
	v_cndmask_b32_e64 v25, v51, v37, s[44:45]
	v_cndmask_b32_e32 v51, v95, v37, vcc
	v_cndmask_b32_e64 v13, v40, v34, s[44:45]
	v_accvgpr_read_b32 v40, a110
	v_cndmask_b32_e64 v16, v41, v35, s[46:47]
	v_cndmask_b32_e64 v21, v14, v36, s[44:45]
	v_accvgpr_read_b32 v41, a159
	v_accvgpr_read_b32 v14, a96
	v_cndmask_b32_e64 v6, v18, v34, s[40:41]
	v_cndmask_b32_e64 v18, v33, v35, s[42:43]
	;; [unrolled: 1-line block ×3, first 2 shown]
	v_accvgpr_read_b32 v33, a49
	v_cndmask_b32_e64 v19, v19, v35, s[40:41]
	v_cndmask_b32_e64 v46, v24, v34, s[38:39]
	;; [unrolled: 1-line block ×5, first 2 shown]
	s_waitcnt vmcnt(5)
	v_accvgpr_read_b32 v63, a11
	scratch_load_dwordx4 a[0:3], off, off offset:736 ; 16-byte Folded Reload
	scratch_load_dwordx4 a[4:7], off, off offset:752 ; 16-byte Folded Reload
	scratch_load_dwordx4 a[8:11], off, off offset:768 ; 16-byte Folded Reload
	scratch_load_dwordx4 a[12:15], off, off offset:784 ; 16-byte Folded Reload
	scratch_load_dwordx4 a[16:19], off, off offset:800 ; 16-byte Folded Reload
	scratch_load_dwordx4 a[20:23], off, off offset:816 ; 16-byte Folded Reload
	scratch_load_dwordx4 a[24:27], off, off offset:832 ; 16-byte Folded Reload
	scratch_load_dwordx4 a[28:31], off, off offset:848 ; 16-byte Folded Reload
	v_cndmask_b32_e64 v8, v8, v63, s[28:29]
	s_waitcnt vmcnt(4)
	v_accvgpr_read_b32 v61, a13
	scratch_load_dwordx4 a[0:3], off, off offset:992 ; 16-byte Folded Reload
	scratch_load_dwordx4 a[4:7], off, off offset:1008 ; 16-byte Folded Reload
	scratch_load_dwordx4 a[8:11], off, off offset:1024 ; 16-byte Folded Reload
	scratch_load_dwordx4 a[12:15], off, off offset:1040 ; 16-byte Folded Reload
	scratch_load_dwordx4 a[16:19], off, off offset:1056 ; 16-byte Folded Reload
	scratch_load_dwordx4 a[20:23], off, off offset:1072 ; 16-byte Folded Reload
	scratch_load_dwordx4 a[24:27], off, off offset:1088 ; 16-byte Folded Reload
	scratch_load_dwordx4 a[28:31], off, off offset:1104 ; 16-byte Folded Reload
	v_cndmask_b32_e64 v8, v8, v61, s[30:31]
	;; [unrolled: 11-line block ×4, first 2 shown]
	v_cndmask_b32_e64 v38, v38, v56, s[30:31]
	s_waitcnt vmcnt(4)
	v_accvgpr_read_b32 v54, a14
	scratch_load_dwordx4 a[0:3], off, off offset:352 ; 16-byte Folded Reload
	scratch_load_dwordx4 a[4:7], off, off offset:368 ; 16-byte Folded Reload
	;; [unrolled: 1-line block ×8, first 2 shown]
	v_cndmask_b32_e64 v42, v42, v54, s[16:17]
	v_cndmask_b32_e64 v38, v38, v54, s[34:35]
	s_waitcnt vmcnt(3)
	v_accvgpr_read_b32 v57, a17
	scratch_load_dwordx4 a[0:3], off, off offset:480 ; 16-byte Folded Reload
	scratch_load_dwordx4 a[4:7], off, off offset:496 ; 16-byte Folded Reload
	;; [unrolled: 1-line block ×8, first 2 shown]
	v_cndmask_b32_e64 v39, v8, v57, s[36:37]
	v_cndmask_b32_e64 v8, v255, v185, s[4:5]
	;; [unrolled: 1-line block ×16, first 2 shown]
	s_waitcnt vmcnt(3)
	v_accvgpr_read_b32 v52, a16
	v_cndmask_b32_e64 v42, v42, v52, s[18:19]
	v_cndmask_b32_e64 v38, v38, v52, s[36:37]
	v_mul_f64 v[42:43], v[42:43], v[30:31]
	v_fmac_f64_e32 v[42:43], v[38:39], v[28:29]
	v_cndmask_b32_e64 v58, v61, v43, s[44:45]
	v_cndmask_b32_e32 v60, v84, v42, vcc
	v_cndmask_b32_e32 v61, v85, v43, vcc
	scratch_load_dwordx4 v[76:79], off, off offset:2656 ; 16-byte Folded Reload
	scratch_load_dwordx4 v[80:83], off, off offset:2672 ; 16-byte Folded Reload
	;; [unrolled: 1-line block ×8, first 2 shown]
	v_cndmask_b32_e64 v38, v188, v174, s[4:5]
	v_cndmask_b32_e64 v38, v38, v186, s[6:7]
	;; [unrolled: 1-line block ×20, first 2 shown]
	v_cmp_eq_u32_e64 s[4:5], 2, v5
	v_cmp_eq_u32_e64 s[6:7], 2, v4
	;; [unrolled: 1-line block ×3, first 2 shown]
	s_waitcnt vmcnt(7)
	v_cndmask_b32_e64 v77, v109, v35, s[4:5]
	s_waitcnt vmcnt(6)
	v_cndmask_b32_e64 v80, v114, v36, s[4:5]
	v_cndmask_b32_e64 v83, v115, v37, s[4:5]
	s_waitcnt vmcnt(5)
	v_cndmask_b32_e64 v86, v180, v42, s[4:5]
	s_waitcnt vmcnt(4)
	v_cndmask_b32_e64 v89, v181, v43, s[4:5]
	v_cmp_eq_u32_e64 s[10:11], 4, v4
	v_cmp_eq_u32_e64 s[12:13], 5, v4
	;; [unrolled: 1-line block ×4, first 2 shown]
	v_cndmask_b32_e64 v59, v63, v43, s[46:47]
	v_cndmask_b32_e64 v62, v196, v42, s[38:39]
	;; [unrolled: 1-line block ×4, first 2 shown]
	s_waitcnt vmcnt(3)
	v_mov_b32_e32 v32, v92
	v_cndmask_b32_e64 v38, v38, v32, s[18:19]
	v_mul_f64 v[30:31], v[38:39], v[30:31]
	v_cndmask_b32_e64 v38, v188, v174, s[20:21]
	v_cndmask_b32_e64 v38, v38, v186, s[22:23]
	;; [unrolled: 1-line block ×9, first 2 shown]
	v_fmac_f64_e32 v[30:31], v[38:39], v[28:29]
	v_lshlrev_b32_e32 v8, 2, v5
	v_mov_b32_e32 v28, 0
	v_add3_u32 v8, v28, v8, 40
	scratch_load_dword v8, v8, off
	v_cndmask_b32_e64 v64, v32, v30, s[40:41]
	v_cndmask_b32_e64 v14, v14, v30, s[42:43]
	;; [unrolled: 1-line block ×4, first 2 shown]
	v_cmp_eq_u32_e64 s[40:41], 1, v5
	v_cmp_eq_u32_e64 s[42:43], 0, v5
	s_waitcnt vmcnt(2)
	v_cndmask_b32_e64 v101, v71, v31, s[46:47]
	v_cndmask_b32_e64 v71, v108, v34, s[4:5]
	v_cndmask_b32_e64 v81, v116, v36, s[40:41]
	v_cndmask_b32_e64 v82, v178, v36, s[42:43]
	v_cndmask_b32_e64 v84, v117, v37, s[40:41]
	v_cndmask_b32_e64 v85, v179, v37, s[42:43]
	v_cndmask_b32_e64 v93, v186, v30, s[4:5]
	v_cndmask_b32_e64 v99, v187, v31, s[4:5]
	v_cmp_eq_u32_e64 s[4:5], 1, v4
	v_cmp_eq_u32_e64 s[18:19], 8, v4
	;; [unrolled: 1-line block ×3, first 2 shown]
	v_cndmask_b32_e64 v4, v82, v81, s[4:5]
	v_cndmask_b32_e64 v4, v4, v80, s[6:7]
	;; [unrolled: 1-line block ×7, first 2 shown]
	v_cmp_eq_u32_e64 s[22:23], 2, v12
	v_cmp_eq_u32_e64 s[24:25], 3, v12
	;; [unrolled: 1-line block ×7, first 2 shown]
	v_cndmask_b32_e64 v78, v111, v35, s[40:41]
	v_cndmask_b32_e64 v79, v113, v35, s[42:43]
	v_cndmask_b32_e64 v72, v110, v34, s[40:41]
	v_cndmask_b32_e64 v76, v112, v34, s[42:43]
	v_cndmask_b32_e64 v70, v228, v30, s[38:39]
	v_cndmask_b32_e64 v75, v229, v31, s[38:39]
	v_cndmask_b32_e64 v65, v40, v30, s[44:45]
	v_cndmask_b32_e64 v66, v152, v30, s[46:47]
	v_cndmask_b32_e64 v69, v69, v31, s[44:45]
	v_cndmask_b32_e32 v92, v118, v30, vcc
	v_cndmask_b32_e64 v96, v174, v30, s[40:41]
	v_cndmask_b32_e64 v97, v188, v30, s[42:43]
	v_cndmask_b32_e32 v98, v119, v31, vcc
	v_cndmask_b32_e64 v100, v189, v31, s[42:43]
	v_cndmask_b32_e64 v87, v184, v42, s[40:41]
	;; [unrolled: 1-line block ×5, first 2 shown]
	s_waitcnt vmcnt(0)
	v_lshlrev_b32_e32 v29, 2, v8
	v_add3_u32 v28, v28, v29, 40
	scratch_load_dword v73, v28, off
	v_cndmask_b32_e64 v28, v85, v84, s[4:5]
	v_cndmask_b32_e64 v28, v28, v83, s[6:7]
	;; [unrolled: 1-line block ×25, first 2 shown]
	v_add_f64 v[32:33], -v[28:29], 0
	v_add_f64 v[36:37], v[34:35], -v[28:29]
	v_div_scale_f64 v[38:39], s[38:39], v[36:37], v[36:37], v[32:33]
	v_rcp_f64_e32 v[40:41], v[38:39]
	v_cndmask_b32_e64 v4, v175, v31, s[40:41]
	v_cmp_eq_u32_e64 s[38:39], 3, v8
	v_cmp_eq_u32_e64 s[40:41], 2, v8
	v_fma_f64 v[30:31], -v[38:39], v[40:41], 1.0
	v_fmac_f64_e32 v[40:41], v[40:41], v[30:31]
	v_fma_f64 v[30:31], -v[38:39], v[40:41], 1.0
	v_fmac_f64_e32 v[40:41], v[40:41], v[30:31]
	v_div_scale_f64 v[30:31], vcc, v[32:33], v[36:37], v[32:33]
	v_mul_f64 v[42:43], v[30:31], v[40:41]
	v_fma_f64 v[30:31], -v[38:39], v[42:43], v[30:31]
	v_cmp_eq_u32_e64 s[42:43], 1, v8
	s_nop 0
	v_div_fmas_f64 v[30:31], v[30:31], v[40:41], v[42:43]
	v_div_fixup_f64 v[30:31], v[30:31], v[36:37], v[32:33]
	v_cndmask_b32_e64 v36, v79, v78, s[4:5]
	v_cndmask_b32_e64 v32, v79, v78, s[20:21]
	;; [unrolled: 1-line block ×31, first 2 shown]
	v_add_f64 v[38:39], -v[30:31], 1.0
	v_cndmask_b32_e64 v32, v32, v6, s[36:37]
	v_mul_f64 v[36:37], v[36:37], v[38:39]
	v_fmac_f64_e32 v[36:37], v[32:33], v[30:31]
	v_cmp_eq_u32_e32 vcc, 4, v8
	s_waitcnt vmcnt(0)
	scratch_store_dword off, v73, off offset:84
	v_cmp_eq_u32_e64 s[44:45], 0, v8
	v_cndmask_b32_e32 v33, v45, v37, vcc
	v_cndmask_b32_e32 v32, v44, v36, vcc
	scratch_store_dwordx4 off, v[24:27], off offset:96 ; 16-byte Folded Spill
	s_nop 0
	scratch_store_dwordx4 off, v[28:31], off offset:112 ; 16-byte Folded Spill
	scratch_store_dwordx4 off, v[32:35], off offset:128 ; 16-byte Folded Spill
	;; [unrolled: 1-line block ×7, first 2 shown]
	v_cndmask_b32_e64 v33, v47, v37, s[38:39]
	v_cndmask_b32_e64 v32, v46, v36, s[38:39]
	scratch_store_dwordx4 off, v[26:29], off offset:224 ; 16-byte Folded Spill
	s_nop 0
	scratch_store_dwordx4 off, v[30:33], off offset:240 ; 16-byte Folded Spill
	scratch_store_dwordx4 off, v[34:37], off offset:256 ; 16-byte Folded Spill
	;; [unrolled: 1-line block ×7, first 2 shown]
	v_cndmask_b32_e64 v32, v91, v90, s[20:21]
	v_cndmask_b32_e64 v32, v32, v89, s[22:23]
	;; [unrolled: 1-line block ×22, first 2 shown]
	v_mul_f64 v[28:29], v[28:29], v[38:39]
	v_fmac_f64_e32 v[28:29], v[34:35], v[30:31]
	v_cndmask_b32_e64 v34, v91, v90, s[4:5]
	v_cndmask_b32_e64 v34, v34, v89, s[6:7]
	;; [unrolled: 1-line block ×26, first 2 shown]
	v_mul_f64 v[34:35], v[34:35], v[38:39]
	v_fmac_f64_e32 v[34:35], v[32:33], v[30:31]
	v_cndmask_b32_e64 v32, v100, v4, s[20:21]
	v_cndmask_b32_e64 v32, v32, v99, s[22:23]
	;; [unrolled: 1-line block ×16, first 2 shown]
	v_mul_f64 v[38:39], v[40:41], v[38:39]
	v_cmp_eq_u32_e64 s[8:9], 8, v8
	v_fmac_f64_e32 v[38:39], v[32:33], v[30:31]
	v_cndmask_b32_e32 v95, v51, v29, vcc
	v_cndmask_b32_e64 v19, v19, v37, s[8:9]
	v_cndmask_b32_e32 v94, v50, v28, vcc
	v_cndmask_b32_e64 v121, v49, v29, s[38:39]
	v_cndmask_b32_e64 v120, v48, v28, s[38:39]
	;; [unrolled: 1-line block ×8, first 2 shown]
	v_cndmask_b32_e32 v85, v61, v35, vcc
	v_cndmask_b32_e32 v84, v60, v34, vcc
	;; [unrolled: 1-line block ×4, first 2 shown]
	v_cndmask_b32_e64 v175, v4, v39, s[42:43]
	v_cmp_eq_u32_e32 vcc, 7, v8
	v_cmp_eq_u32_e64 s[4:5], 6, v8
	v_cmp_eq_u32_e64 s[6:7], 5, v8
	scratch_store_dwordx4 off, v[2:5], off offset:2016 ; 16-byte Folded Spill
	s_nop 0
	scratch_store_dwordx4 off, v[6:9], off offset:2032 ; 16-byte Folded Spill
	scratch_store_dwordx4 off, v[10:13], off offset:2048 ; 16-byte Folded Spill
	;; [unrolled: 1-line block ×7, first 2 shown]
	v_cndmask_b32_e64 v109, v77, v37, s[40:41]
	v_cndmask_b32_e64 v108, v71, v36, s[40:41]
	;; [unrolled: 1-line block ×22, first 2 shown]
	scratch_store_dwordx4 off, v[14:17], off offset:2144 ; 16-byte Folded Spill
	s_nop 0
	scratch_store_dwordx4 off, v[18:21], off offset:2160 ; 16-byte Folded Spill
	scratch_store_dwordx4 off, v[22:25], off offset:2176 ; 16-byte Folded Spill
	;; [unrolled: 1-line block ×7, first 2 shown]
	v_cndmask_b32_e32 v19, v18, v37, vcc
	v_cndmask_b32_e32 v18, v9, v36, vcc
	v_accvgpr_write_b32 a127, v19
	scratch_store_dwordx4 off, v[4:7], off offset:2272 ; 16-byte Folded Spill
	s_nop 0
	scratch_store_dwordx4 off, v[8:11], off offset:2288 ; 16-byte Folded Spill
	scratch_store_dwordx4 off, v[12:15], off offset:2304 ; 16-byte Folded Spill
	scratch_store_dwordx4 off, v[16:19], off offset:2320 ; 16-byte Folded Spill
	scratch_store_dwordx4 off, v[20:23], off offset:2336 ; 16-byte Folded Spill
	scratch_store_dwordx4 off, v[24:27], off offset:2352 ; 16-byte Folded Spill
	scratch_store_dwordx4 off, v[28:31], off offset:2368 ; 16-byte Folded Spill
	scratch_store_dwordx4 off, v[32:35], off offset:2384 ; 16-byte Folded Spill
	v_cndmask_b32_e64 v17, v17, v37, s[4:5]
	v_cndmask_b32_e64 v18, v13, v36, s[4:5]
	v_accvgpr_write_b32 a229, v17
	scratch_store_dwordx4 off, v[6:9], off offset:2400 ; 16-byte Folded Spill
	s_nop 0
	scratch_store_dwordx4 off, v[10:13], off offset:2416 ; 16-byte Folded Spill
	scratch_store_dwordx4 off, v[14:17], off offset:2432 ; 16-byte Folded Spill
	;; [unrolled: 1-line block ×7, first 2 shown]
	v_cndmask_b32_e64 v13, v16, v37, s[6:7]
	v_mov_b32_e32 v16, v74
	v_cndmask_b32_e64 v18, v15, v36, s[6:7]
	v_accvgpr_write_b32 a197, v13
	scratch_store_dwordx4 off, v[8:11], off offset:2528 ; 16-byte Folded Spill
	s_nop 0
	scratch_store_dwordx4 off, v[12:15], off offset:2544 ; 16-byte Folded Spill
	scratch_store_dwordx4 off, v[16:19], off offset:2560 ; 16-byte Folded Spill
	;; [unrolled: 1-line block ×7, first 2 shown]
	v_cndmask_b32_e64 v17, v27, v29, s[8:9]
	scratch_store_dwordx4 off, v[0:3], off offset:1248 ; 16-byte Folded Spill
	s_nop 0
	scratch_store_dwordx4 off, v[4:7], off offset:1264 ; 16-byte Folded Spill
	scratch_store_dwordx4 off, v[8:11], off offset:1280 ; 16-byte Folded Spill
	;; [unrolled: 1-line block ×7, first 2 shown]
	v_cndmask_b32_e64 v18, v23, v28, s[8:9]
	v_cndmask_b32_e32 v15, v26, v29, vcc
	v_accvgpr_write_b32 a32, v18
	scratch_store_dwordx4 off, v[0:3], off offset:1632 ; 16-byte Folded Spill
	s_nop 0
	scratch_store_dwordx4 off, v[4:7], off offset:1648 ; 16-byte Folded Spill
	scratch_store_dwordx4 off, v[8:11], off offset:1664 ; 16-byte Folded Spill
	;; [unrolled: 1-line block ×7, first 2 shown]
	v_cndmask_b32_e64 v13, v25, v29, s[4:5]
	v_cndmask_b32_e32 v90, v22, v28, vcc
	scratch_store_dwordx4 off, v[0:3], off offset:1760 ; 16-byte Folded Spill
	s_nop 0
	scratch_store_dwordx4 off, v[4:7], off offset:1776 ; 16-byte Folded Spill
	scratch_store_dwordx4 off, v[8:11], off offset:1792 ; 16-byte Folded Spill
	scratch_store_dwordx4 off, v[12:15], off offset:1808 ; 16-byte Folded Spill
	scratch_store_dwordx4 off, v[16:19], off offset:1824 ; 16-byte Folded Spill
	scratch_store_dwordx4 off, v[20:23], off offset:1840 ; 16-byte Folded Spill
	scratch_store_dwordx4 off, v[24:27], off offset:1856 ; 16-byte Folded Spill
	scratch_store_dwordx4 off, v[28:31], off offset:1872 ; 16-byte Folded Spill
	v_cndmask_b32_e64 v18, v21, v28, s[4:5]
	scratch_store_dwordx4 off, v[6:9], off offset:1376 ; 16-byte Folded Spill
	s_nop 0
	scratch_store_dwordx4 off, v[10:13], off offset:1392 ; 16-byte Folded Spill
	scratch_store_dwordx4 off, v[14:17], off offset:1408 ; 16-byte Folded Spill
	scratch_store_dwordx4 off, v[18:21], off offset:1424 ; 16-byte Folded Spill
	scratch_store_dwordx4 off, v[22:25], off offset:1440 ; 16-byte Folded Spill
	scratch_store_dwordx4 off, v[26:29], off offset:1456 ; 16-byte Folded Spill
	scratch_store_dwordx4 off, v[30:33], off offset:1472 ; 16-byte Folded Spill
	scratch_store_dwordx4 off, v[34:37], off offset:1488 ; 16-byte Folded Spill
	v_cndmask_b32_e64 v13, v24, v29, s[6:7]
	;; [unrolled: 10-line block ×5, first 2 shown]
	scratch_store_dwordx4 off, v[2:5], off offset:480 ; 16-byte Folded Spill
	s_nop 0
	scratch_store_dwordx4 off, v[6:9], off offset:496 ; 16-byte Folded Spill
	scratch_store_dwordx4 off, v[10:13], off offset:512 ; 16-byte Folded Spill
	;; [unrolled: 1-line block ×7, first 2 shown]
	v_cndmask_b32_e32 v15, v57, v35, vcc
	scratch_store_dwordx4 off, v[0:3], off offset:992 ; 16-byte Folded Spill
	s_nop 0
	scratch_store_dwordx4 off, v[4:7], off offset:1008 ; 16-byte Folded Spill
	scratch_store_dwordx4 off, v[8:11], off offset:1024 ; 16-byte Folded Spill
	;; [unrolled: 1-line block ×7, first 2 shown]
	v_cndmask_b32_e32 v18, v53, v34, vcc
	scratch_store_dwordx4 off, v[4:7], off offset:864 ; 16-byte Folded Spill
	s_nop 0
	scratch_store_dwordx4 off, v[8:11], off offset:880 ; 16-byte Folded Spill
	scratch_store_dwordx4 off, v[12:15], off offset:896 ; 16-byte Folded Spill
	;; [unrolled: 1-line block ×7, first 2 shown]
	v_cndmask_b32_e64 v152, v66, v38, s[6:7]
	v_cndmask_b32_e64 v13, v58, v35, s[4:5]
	scratch_store_dwordx4 off, v[0:3], off offset:736 ; 16-byte Folded Spill
	s_nop 0
	scratch_store_dwordx4 off, v[4:7], off offset:752 ; 16-byte Folded Spill
	scratch_store_dwordx4 off, v[8:11], off offset:768 ; 16-byte Folded Spill
	scratch_store_dwordx4 off, v[12:15], off offset:784 ; 16-byte Folded Spill
	scratch_store_dwordx4 off, v[16:19], off offset:800 ; 16-byte Folded Spill
	scratch_store_dwordx4 off, v[20:23], off offset:816 ; 16-byte Folded Spill
	scratch_store_dwordx4 off, v[24:27], off offset:832 ; 16-byte Folded Spill
	scratch_store_dwordx4 off, v[28:31], off offset:848 ; 16-byte Folded Spill
	v_cndmask_b32_e64 v18, v54, v34, s[4:5]
	scratch_store_dwordx4 off, v[6:9], off offset:608 ; 16-byte Folded Spill
	s_nop 0
	scratch_store_dwordx4 off, v[10:13], off offset:624 ; 16-byte Folded Spill
	scratch_store_dwordx4 off, v[14:17], off offset:640 ; 16-byte Folded Spill
	scratch_store_dwordx4 off, v[18:21], off offset:656 ; 16-byte Folded Spill
	scratch_store_dwordx4 off, v[22:25], off offset:672 ; 16-byte Folded Spill
	scratch_store_dwordx4 off, v[26:29], off offset:688 ; 16-byte Folded Spill
	scratch_store_dwordx4 off, v[30:33], off offset:704 ; 16-byte Folded Spill
	scratch_store_dwordx4 off, v[34:37], off offset:720 ; 16-byte Folded Spill
	;; [unrolled: 10-line block ×3, first 2 shown]
	v_cndmask_b32_e64 v17, v67, v39, s[8:9]
	v_cndmask_b32_e64 v18, v64, v38, s[8:9]
	v_accvgpr_write_b32 a49, v17
	scratch_store_dwordx4 off, v[2:5], off offset:2656 ; 16-byte Folded Spill
	s_nop 0
	scratch_store_dwordx4 off, v[6:9], off offset:2672 ; 16-byte Folded Spill
	scratch_store_dwordx4 off, v[10:13], off offset:2688 ; 16-byte Folded Spill
	;; [unrolled: 1-line block ×7, first 2 shown]
	v_cndmask_b32_e64 v13, v69, v39, s[4:5]
	v_cndmask_b32_e32 v15, v68, v39, vcc
	v_accvgpr_write_b32 a173, v13
	v_cndmask_b32_e64 v13, v101, v39, s[6:7]
	v_cndmask_b32_e64 v130, v55, v34, s[6:7]
	v_accvgpr_write_b32 a159, v15
	v_accvgpr_write_b32 a185, v13
	v_cndmask_b32_e32 v14, v14, v38, vcc
	v_accvgpr_write_b32 a96, v14
	v_cndmask_b32_e64 v14, v65, v38, s[4:5]
	v_accvgpr_write_b32 a110, v14
.LBB4_44:
	s_or_b64 exec, exec, s[52:53]
	scratch_store_dword off, v7, off offset:80
	s_and_saveexec_b64 s[16:17], s[0:1]
	s_cbranch_execz .LBB4_53
; %bb.45:
	s_mov_b64 s[18:19], 0
	s_branch .LBB4_47
.LBB4_46:                               ;   in Loop: Header=BB4_47 Depth=1
	s_or_b64 exec, exec, s[6:7]
	s_waitcnt vmcnt(0)
	v_cmp_gt_i32_e32 vcc, 0, v4
	s_or_b64 s[18:19], vcc, s[18:19]
	v_mov_b32_e32 v10, v4
	s_andn2_b64 exec, exec, s[18:19]
	s_cbranch_execz .LBB4_53
.LBB4_47:                               ; =>This Inner Loop Header: Depth=1
	scratch_load_dwordx4 v[18:21], off, off offset:1888 ; 16-byte Folded Reload
	scratch_load_dwordx4 v[22:25], off, off offset:1904 ; 16-byte Folded Reload
	;; [unrolled: 1-line block ×8, first 2 shown]
	v_cmp_eq_u32_e32 vcc, 1, v10
	v_cmp_eq_u32_e64 s[4:5], 2, v10
	v_cmp_eq_u32_e64 s[6:7], 3, v10
	v_cndmask_b32_e32 v4, v179, v117, vcc
	v_cndmask_b32_e64 v4, v4, v115, s[4:5]
	v_cndmask_b32_e64 v4, v4, v121, s[6:7]
	v_cmp_eq_u32_e64 s[8:9], 4, v10
	v_cmp_eq_u32_e64 s[10:11], 5, v10
	;; [unrolled: 1-line block ×3, first 2 shown]
	v_cndmask_b32_e64 v4, v4, v95, s[8:9]
	v_cmp_eq_u32_e64 s[14:15], 7, v10
	v_cndmask_b32_e32 v6, v178, v116, vcc
	v_cndmask_b32_e64 v6, v6, v114, s[4:5]
	v_cndmask_b32_e64 v6, v6, v120, s[6:7]
	;; [unrolled: 1-line block ×3, first 2 shown]
	v_cmp_eq_u32_e32 vcc, 8, v10
	s_mov_b64 s[4:5], 0
	s_waitcnt vmcnt(5)
	v_cndmask_b32_e64 v4, v4, v29, s[10:11]
	scratch_load_dwordx4 v[18:21], off, off offset:1760 ; 16-byte Folded Reload
	scratch_load_dwordx4 v[22:25], off, off offset:1776 ; 16-byte Folded Reload
	scratch_load_dwordx4 v[26:29], off, off offset:1792 ; 16-byte Folded Reload
	scratch_load_dwordx4 v[30:33], off, off offset:1808 ; 16-byte Folded Reload
	scratch_load_dwordx4 v[34:37], off, off offset:1824 ; 16-byte Folded Reload
	scratch_load_dwordx4 v[38:41], off, off offset:1840 ; 16-byte Folded Reload
	scratch_load_dwordx4 v[42:45], off, off offset:1856 ; 16-byte Folded Reload
	scratch_load_dwordx4 v[46:49], off, off offset:1872 ; 16-byte Folded Reload
	s_waitcnt vmcnt(4)
	v_cndmask_b32_e64 v4, v4, v31, s[12:13]
	scratch_load_dwordx4 v[18:21], off, off offset:1632 ; 16-byte Folded Reload
	scratch_load_dwordx4 v[22:25], off, off offset:1648 ; 16-byte Folded Reload
	scratch_load_dwordx4 v[26:29], off, off offset:1664 ; 16-byte Folded Reload
	scratch_load_dwordx4 v[30:33], off, off offset:1680 ; 16-byte Folded Reload
	scratch_load_dwordx4 v[34:37], off, off offset:1696 ; 16-byte Folded Reload
	scratch_load_dwordx4 v[38:41], off, off offset:1712 ; 16-byte Folded Reload
	scratch_load_dwordx4 v[42:45], off, off offset:1728 ; 16-byte Folded Reload
	scratch_load_dwordx4 v[46:49], off, off offset:1744 ; 16-byte Folded Reload
	;; [unrolled: 10-line block ×5, first 2 shown]
	v_cndmask_b32_e64 v6, v6, v90, s[14:15]
	s_waitcnt vmcnt(7)
	v_accvgpr_read_b32 v18, a32
	v_cndmask_b32_e32 v6, v6, v18, vcc
	s_waitcnt vmcnt(3)
	v_cndmask_b32_e32 v7, v4, v35, vcc
	v_cmp_ngt_f64_e32 vcc, 0, v[6:7]
	v_lshl_add_u32 v7, v10, 2, v16
	scratch_load_dword v4, v7, off
                                        ; implicit-def: $vgpr6
	s_and_saveexec_b64 s[6:7], vcc
	s_xor_b64 s[6:7], exec, s[6:7]
	s_cbranch_execnz .LBB4_50
; %bb.48:                               ;   in Loop: Header=BB4_47 Depth=1
	s_andn2_saveexec_b64 s[6:7], s[6:7]
	s_cbranch_execnz .LBB4_51
.LBB4_49:                               ;   in Loop: Header=BB4_47 Depth=1
	s_or_b64 exec, exec, s[6:7]
	s_and_saveexec_b64 s[6:7], s[4:5]
	s_cbranch_execz .LBB4_46
	s_branch .LBB4_52
.LBB4_50:                               ;   in Loop: Header=BB4_47 Depth=1
	scratch_load_dword v6, off, off offset:80
                                        ; implicit-def: $vgpr7
	s_waitcnt vmcnt(0)
	v_cmp_eq_u32_e32 vcc, -1, v6
	v_mov_b32_e32 v6, 0x50
	s_and_b64 s[4:5], vcc, exec
	s_andn2_saveexec_b64 s[6:7], s[6:7]
	s_cbranch_execz .LBB4_49
.LBB4_51:                               ;   in Loop: Header=BB4_47 Depth=1
	scratch_load_dword v9, off, off offset:84
	v_mov_b32_e32 v6, 0x54
	s_or_b64 s[4:5], s[4:5], exec
	s_waitcnt vmcnt(0)
	scratch_store_dword v7, v9, off
	s_or_b64 exec, exec, s[6:7]
	s_and_saveexec_b64 s[6:7], s[4:5]
	s_cbranch_execz .LBB4_46
.LBB4_52:                               ;   in Loop: Header=BB4_47 Depth=1
	scratch_store_dword v6, v10, off
	s_branch .LBB4_46
.LBB4_53:
	s_or_b64 exec, exec, s[16:17]
	s_and_saveexec_b64 s[4:5], s[2:3]
	s_cbranch_execz .LBB4_55
; %bb.54:
	v_cmp_gt_f64_e32 vcc, 0, v[0:1]
	v_lshlrev_b32_e32 v0, 2, v11
	v_mov_b32_e32 v1, 0
	v_cmp_gt_f64_e64 s[2:3], 0, v[2:3]
	s_and_b64 s[0:1], s[0:1], vcc
	v_add3_u32 v0, v1, v0, 40
	v_lshlrev_b32_e32 v4, 2, v5
	s_or_b64 s[0:1], s[2:3], s[0:1]
	v_lshlrev_b32_e32 v3, 2, v8
	v_add3_u32 v4, v1, v4, 40
	v_cndmask_b32_e64 v2, v12, -1, s[0:1]
	v_add3_u32 v1, v1, v3, 40
	scratch_store_dword v0, v5, off
	scratch_store_dword v4, v8, off
	scratch_store_dword v1, v2, off
.LBB4_55:
	s_or_b64 exec, exec, s[4:5]
	scratch_load_dword v10, off, off offset:80
	scratch_load_dwordx4 v[18:21], off, off offset:1120 ; 16-byte Folded Reload
	scratch_load_dwordx4 v[22:25], off, off offset:1136 ; 16-byte Folded Reload
	;; [unrolled: 1-line block ×8, first 2 shown]
	v_mov_b64_e32 v[4:5], -1
	v_mov_b32_e32 v11, -1
	v_mov_b32_e32 v12, -1
	v_mov_b64_e32 v[6:7], v[4:5]
	s_waitcnt vmcnt(8)
	v_cmp_eq_u32_e32 vcc, 1, v10
	s_nop 1
	v_cndmask_b32_e32 v0, v255, v185, vcc
	v_cmp_eq_u32_e64 s[0:1], 2, v10
	v_cmp_eq_u32_e64 s[2:3], 3, v10
	v_cndmask_b32_e32 v1, v254, v184, vcc
	v_cndmask_b32_e64 v0, v0, v181, s[0:1]
	v_cndmask_b32_e64 v0, v0, v197, s[2:3]
	v_cmp_eq_u32_e32 vcc, 4, v10
	v_cndmask_b32_e64 v1, v1, v180, s[0:1]
	v_cmp_eq_u32_e64 s[0:1], 5, v10
	v_cndmask_b32_e32 v0, v0, v85, vcc
	v_cndmask_b32_e64 v1, v1, v196, s[2:3]
	s_waitcnt vmcnt(5)
	v_cndmask_b32_e64 v0, v0, v29, s[0:1]
	scratch_load_dwordx4 v[18:21], off, off offset:736 ; 16-byte Folded Reload
	scratch_load_dwordx4 v[22:25], off, off offset:752 ; 16-byte Folded Reload
	;; [unrolled: 1-line block ×8, first 2 shown]
	v_cndmask_b32_e32 v1, v1, v84, vcc
	v_cmp_eq_u32_e32 vcc, 6, v10
	v_cndmask_b32_e64 v1, v1, v130, s[0:1]
	v_cmp_eq_u32_e64 s[0:1], 7, v10
	s_waitcnt vmcnt(4)
	v_cndmask_b32_e32 v0, v0, v31, vcc
	scratch_load_dwordx4 v[18:21], off, off offset:992 ; 16-byte Folded Reload
	scratch_load_dwordx4 v[22:25], off, off offset:1008 ; 16-byte Folded Reload
	;; [unrolled: 1-line block ×8, first 2 shown]
	s_waitcnt vmcnt(4)
	v_cndmask_b32_e64 v0, v0, v33, s[0:1]
	scratch_load_dwordx4 v[18:21], off, off offset:608 ; 16-byte Folded Reload
	scratch_load_dwordx4 v[22:25], off, off offset:624 ; 16-byte Folded Reload
	;; [unrolled: 1-line block ×8, first 2 shown]
	s_waitcnt vmcnt(4)
	v_cndmask_b32_e32 v1, v1, v30, vcc
	scratch_load_dwordx4 v[18:21], off, off offset:864 ; 16-byte Folded Reload
	scratch_load_dwordx4 v[22:25], off, off offset:880 ; 16-byte Folded Reload
	;; [unrolled: 1-line block ×8, first 2 shown]
	v_cmp_eq_u32_e32 vcc, 8, v10
	s_waitcnt vmcnt(4)
	v_cndmask_b32_e64 v2, v1, v32, s[0:1]
	scratch_load_dwordx4 v[18:21], off, off offset:352 ; 16-byte Folded Reload
	scratch_load_dwordx4 v[22:25], off, off offset:368 ; 16-byte Folded Reload
	scratch_load_dwordx4 v[26:29], off, off offset:384 ; 16-byte Folded Reload
	scratch_load_dwordx4 v[30:33], off, off offset:400 ; 16-byte Folded Reload
	scratch_load_dwordx4 v[34:37], off, off offset:416 ; 16-byte Folded Reload
	scratch_load_dwordx4 v[38:41], off, off offset:432 ; 16-byte Folded Reload
	scratch_load_dwordx4 v[42:45], off, off offset:448 ; 16-byte Folded Reload
	scratch_load_dwordx4 v[46:49], off, off offset:464 ; 16-byte Folded Reload
	v_cmp_lt_i32_e64 s[0:1], -1, v10
	s_waitcnt vmcnt(3)
	v_cndmask_b32_e32 v1, v0, v35, vcc
	scratch_load_dwordx4 v[18:21], off, off offset:480 ; 16-byte Folded Reload
	scratch_load_dwordx4 v[22:25], off, off offset:496 ; 16-byte Folded Reload
	;; [unrolled: 1-line block ×8, first 2 shown]
	s_waitcnt vmcnt(3)
	v_cndmask_b32_e32 v0, v2, v34, vcc
	v_mov_b64_e32 v[2:3], 0
	s_and_saveexec_b64 s[10:11], s[0:1]
	s_cbranch_execz .LBB4_59
; %bb.56:
	scratch_load_dwordx4 v[18:21], off, off offset:352 ; 16-byte Folded Reload
	scratch_load_dwordx4 v[22:25], off, off offset:368 ; 16-byte Folded Reload
	scratch_load_dwordx4 v[26:29], off, off offset:384 ; 16-byte Folded Reload
	scratch_load_dwordx4 v[30:33], off, off offset:400 ; 16-byte Folded Reload
	scratch_load_dwordx4 v[34:37], off, off offset:416 ; 16-byte Folded Reload
	scratch_load_dwordx4 v[38:41], off, off offset:432 ; 16-byte Folded Reload
	scratch_load_dwordx4 v[42:45], off, off offset:448 ; 16-byte Folded Reload
	scratch_load_dwordx4 v[46:49], off, off offset:464 ; 16-byte Folded Reload
	s_mov_b64 s[12:13], 0
	v_mov_b32_e32 v11, -1
	v_mov_b32_e32 v5, v10
	v_mov_b32_e32 v4, -1
	v_mov_b32_e32 v6, -1
	;; [unrolled: 1-line block ×3, first 2 shown]
	v_mov_b64_e32 v[8:9], v[0:1]
	s_waitcnt vmcnt(3)
	v_mov_b32_e32 v19, v35
	scratch_load_dwordx4 v[20:23], off, off offset:992 ; 16-byte Folded Reload
	scratch_load_dwordx4 v[24:27], off, off offset:1008 ; 16-byte Folded Reload
	scratch_load_dwordx4 v[28:31], off, off offset:1024 ; 16-byte Folded Reload
	scratch_load_dwordx4 v[32:35], off, off offset:1040 ; 16-byte Folded Reload
	scratch_load_dwordx4 v[36:39], off, off offset:1056 ; 16-byte Folded Reload
	scratch_load_dwordx4 v[40:43], off, off offset:1072 ; 16-byte Folded Reload
	scratch_load_dwordx4 v[44:47], off, off offset:1088 ; 16-byte Folded Reload
	scratch_load_dwordx4 v[48:51], off, off offset:1104 ; 16-byte Folded Reload
	s_waitcnt vmcnt(4)
	v_mov_b32_e32 v15, v35
	scratch_load_dwordx4 v[20:23], off, off offset:736 ; 16-byte Folded Reload
	scratch_load_dwordx4 v[24:27], off, off offset:752 ; 16-byte Folded Reload
	scratch_load_dwordx4 v[28:31], off, off offset:768 ; 16-byte Folded Reload
	scratch_load_dwordx4 v[32:35], off, off offset:784 ; 16-byte Folded Reload
	scratch_load_dwordx4 v[36:39], off, off offset:800 ; 16-byte Folded Reload
	scratch_load_dwordx4 v[40:43], off, off offset:816 ; 16-byte Folded Reload
	scratch_load_dwordx4 v[44:47], off, off offset:832 ; 16-byte Folded Reload
	scratch_load_dwordx4 v[48:51], off, off offset:848 ; 16-byte Folded Reload
	;; [unrolled: 10-line block ×6, first 2 shown]
	s_waitcnt vmcnt(4)
	v_mov_b32_e32 v22, v36
.LBB4_57:                               ; =>This Inner Loop Header: Depth=1
	v_lshl_add_u32 v2, v5, 2, v16
	scratch_load_dword v7, v2, off
	s_waitcnt vmcnt(0)
	v_cmp_gt_i32_e32 vcc, 0, v7
	s_nop 1
	v_cndmask_b32_e32 v13, v7, v10, vcc
	v_cmp_eq_u32_e64 s[2:3], 1, v13
	v_cmp_eq_u32_e64 s[4:5], 2, v13
	;; [unrolled: 1-line block ×3, first 2 shown]
	v_cndmask_b32_e64 v2, v255, v185, s[2:3]
	v_cndmask_b32_e64 v3, v254, v184, s[2:3]
	;; [unrolled: 1-line block ×5, first 2 shown]
	v_cmp_eq_u32_e64 s[2:3], 4, v13
	v_cndmask_b32_e64 v3, v3, v196, s[6:7]
	v_cmp_eq_u32_e64 s[4:5], 5, v13
	v_cndmask_b32_e64 v2, v2, v85, s[2:3]
	v_cndmask_b32_e64 v3, v3, v84, s[2:3]
	;; [unrolled: 1-line block ×3, first 2 shown]
	v_cmp_eq_u32_e64 s[2:3], 6, v13
	v_cndmask_b32_e64 v3, v3, v130, s[4:5]
	v_cmp_eq_u32_e64 s[4:5], 7, v13
	v_cndmask_b32_e64 v2, v2, v21, s[2:3]
	v_cndmask_b32_e64 v3, v3, v22, s[2:3]
	;; [unrolled: 1-line block ×4, first 2 shown]
	v_cmp_eq_u32_e64 s[2:3], 8, v13
	s_nop 1
	v_cndmask_b32_e64 v17, v2, v19, s[2:3]
	v_cndmask_b32_e64 v16, v3, v18, s[2:3]
	v_mov_b64_e32 v[2:3], v[8:9]
	v_cmp_le_f64_e64 s[2:3], 0, v[2:3]
	v_cmp_gt_f64_e64 s[4:5], 0, v[2:3]
	v_cmp_gt_f64_e64 s[6:7], 0, v[16:17]
	v_cmp_le_f64_e64 s[8:9], 0, v[16:17]
	s_and_b64 s[2:3], s[2:3], s[6:7]
	s_and_b64 s[4:5], s[4:5], s[8:9]
	v_cndmask_b32_e64 v6, v6, v13, s[2:3]
	v_cndmask_b32_e64 v12, v12, v13, s[4:5]
	;; [unrolled: 1-line block ×4, first 2 shown]
	s_or_b64 s[12:13], vcc, s[12:13]
	v_mov_b32_e32 v5, v7
	v_mov_b64_e32 v[8:9], v[16:17]
	v_mov_b32_e32 v16, v74
	s_andn2_b64 exec, exec, s[12:13]
	s_cbranch_execnz .LBB4_57
; %bb.58:
	s_or_b64 exec, exec, s[12:13]
.LBB4_59:
	s_or_b64 exec, exec, s[10:11]
	v_cmp_lt_i32_e64 s[2:3], -1, v11
	v_mov_b32_e32 v7, -1
	v_mov_b32_e32 v5, -1
	v_mov_b32_e32 v8, -1
	s_and_saveexec_b64 s[52:53], s[2:3]
	s_cbranch_execz .LBB4_61
; %bb.60:
	scratch_load_dwordx4 v[14:17], off, off offset:1120 ; 16-byte Folded Reload
	scratch_load_dwordx4 v[18:21], off, off offset:1136 ; 16-byte Folded Reload
	;; [unrolled: 1-line block ×8, first 2 shown]
	v_cmp_eq_u32_e64 s[4:5], 1, v6
	v_cmp_eq_u32_e64 s[6:7], 2, v6
	;; [unrolled: 1-line block ×3, first 2 shown]
	v_cndmask_b32_e64 v5, v255, v185, s[4:5]
	v_cmp_eq_u32_e64 s[10:11], 4, v6
	v_cmp_eq_u32_e64 s[12:13], 5, v6
	;; [unrolled: 1-line block ×5, first 2 shown]
	v_cndmask_b32_e64 v6, v254, v184, s[4:5]
	v_cndmask_b32_e64 v5, v5, v181, s[6:7]
	;; [unrolled: 1-line block ×8, first 2 shown]
	v_cmp_eq_u32_e64 s[20:21], 1, v11
	v_cmp_eq_u32_e64 s[22:23], 2, v11
	v_cmp_eq_u32_e64 s[24:25], 3, v11
	v_cmp_eq_u32_e64 s[26:27], 4, v11
	v_cmp_eq_u32_e64 s[28:29], 5, v11
	v_cmp_eq_u32_e64 s[30:31], 6, v11
	v_cmp_eq_u32_e64 s[34:35], 7, v11
	v_cmp_eq_u32_e64 s[36:37], 8, v11
	v_accvgpr_read_b32 v71, a185
	v_accvgpr_read_b32 v69, a173
	s_waitcnt vmcnt(5)
	v_mov_b32_e32 v63, v25
	scratch_load_dwordx4 v[14:17], off, off offset:736 ; 16-byte Folded Reload
	scratch_load_dwordx4 v[18:21], off, off offset:752 ; 16-byte Folded Reload
	scratch_load_dwordx4 v[22:25], off, off offset:768 ; 16-byte Folded Reload
	scratch_load_dwordx4 v[26:29], off, off offset:784 ; 16-byte Folded Reload
	scratch_load_dwordx4 v[30:33], off, off offset:800 ; 16-byte Folded Reload
	scratch_load_dwordx4 v[34:37], off, off offset:816 ; 16-byte Folded Reload
	scratch_load_dwordx4 v[38:41], off, off offset:832 ; 16-byte Folded Reload
	scratch_load_dwordx4 v[42:45], off, off offset:848 ; 16-byte Folded Reload
	v_cndmask_b32_e64 v5, v5, v63, s[12:13]
	s_waitcnt vmcnt(4)
	v_mov_b32_e32 v61, v27
	scratch_load_dwordx4 v[14:17], off, off offset:992 ; 16-byte Folded Reload
	scratch_load_dwordx4 v[18:21], off, off offset:1008 ; 16-byte Folded Reload
	scratch_load_dwordx4 v[22:25], off, off offset:1024 ; 16-byte Folded Reload
	scratch_load_dwordx4 v[26:29], off, off offset:1040 ; 16-byte Folded Reload
	scratch_load_dwordx4 v[30:33], off, off offset:1056 ; 16-byte Folded Reload
	scratch_load_dwordx4 v[34:37], off, off offset:1072 ; 16-byte Folded Reload
	scratch_load_dwordx4 v[38:41], off, off offset:1088 ; 16-byte Folded Reload
	scratch_load_dwordx4 v[42:45], off, off offset:1104 ; 16-byte Folded Reload
	v_cndmask_b32_e64 v5, v5, v61, s[14:15]
	;; [unrolled: 11-line block ×4, first 2 shown]
	s_waitcnt vmcnt(4)
	v_mov_b32_e32 v56, v28
	scratch_load_dwordx4 v[22:25], off, off offset:352 ; 16-byte Folded Reload
	scratch_load_dwordx4 v[26:29], off, off offset:368 ; 16-byte Folded Reload
	;; [unrolled: 1-line block ×24, first 2 shown]
	v_cndmask_b32_e64 v6, v6, v56, s[16:17]
	s_waitcnt vmcnt(19)
	v_accvgpr_read_b32 v41, a197
	v_accvgpr_read_b32 v37, a229
	;; [unrolled: 1-line block ×3, first 2 shown]
	s_waitcnt vmcnt(17)
	v_accvgpr_read_b32 v46, a32
	v_cndmask_b32_e64 v25, v5, v39, s[18:19]
	s_waitcnt vmcnt(11)
	v_accvgpr_read_b32 v38, a16
	v_cndmask_b32_e64 v24, v6, v38, s[18:19]
	v_cndmask_b32_e64 v5, v255, v185, s[20:21]
	;; [unrolled: 1-line block ×17, first 2 shown]
	v_add_f64 v[8:9], -v[24:25], 0
	v_add_f64 v[16:17], v[26:27], -v[24:25]
	v_div_scale_f64 v[18:19], s[38:39], v[16:17], v[16:17], v[8:9]
	v_rcp_f64_e32 v[20:21], v[18:19]
	v_cndmask_b32_e64 v5, v113, v111, s[20:21]
	v_cndmask_b32_e64 v5, v5, v109, s[22:23]
	;; [unrolled: 1-line block ×3, first 2 shown]
	v_fma_f64 v[22:23], -v[18:19], v[20:21], 1.0
	v_fmac_f64_e32 v[20:21], v[20:21], v[22:23]
	v_fma_f64 v[22:23], -v[18:19], v[20:21], 1.0
	v_fmac_f64_e32 v[20:21], v[20:21], v[22:23]
	v_div_scale_f64 v[22:23], vcc, v[8:9], v[16:17], v[8:9]
	v_mul_f64 v[28:29], v[22:23], v[20:21]
	v_fma_f64 v[18:19], -v[18:19], v[28:29], v[22:23]
	v_cndmask_b32_e64 v6, v6, v108, s[22:23]
	s_nop 0
	v_div_fmas_f64 v[18:19], v[18:19], v[20:21], v[28:29]
	s_waitcnt vmcnt(6)
	v_accvgpr_read_b32 v20, a56
	v_accvgpr_read_b32 v21, a57
	scratch_load_dwordx4 a[50:53], off, off offset:96 ; 16-byte Folded Reload
	scratch_load_dwordx4 a[54:57], off, off offset:112 ; 16-byte Folded Reload
	;; [unrolled: 1-line block ×16, first 2 shown]
	v_div_fixup_f64 v[28:29], v[18:19], v[16:17], v[8:9]
	v_cndmask_b32_e64 v5, v5, v21, s[24:25]
	v_cndmask_b32_e64 v6, v6, v20, s[24:25]
	v_add_f64 v[30:31], -v[28:29], 1.0
	v_mul_f64 v[24:25], v[24:25], v[30:31]
	v_fmac_f64_e32 v[24:25], v[26:27], v[28:29]
	v_cndmask_b32_e64 v26, v188, v174, s[4:5]
	v_cndmask_b32_e64 v26, v26, v186, s[6:7]
	;; [unrolled: 1-line block ×5, first 2 shown]
	s_waitcnt vmcnt(13)
	v_accvgpr_read_b32 v22, a58
	s_waitcnt vmcnt(5)
	v_accvgpr_read_b32 v36, a10
	scratch_load_dwordx4 a[0:3], off, off offset:2400 ; 16-byte Folded Reload
	scratch_load_dwordx4 a[4:7], off, off offset:2416 ; 16-byte Folded Reload
	;; [unrolled: 1-line block ×8, first 2 shown]
	v_accvgpr_read_b32 v23, a59
	v_cndmask_b32_e64 v5, v5, v23, s[26:27]
	v_cndmask_b32_e64 v5, v5, v41, s[28:29]
	v_cndmask_b32_e64 v5, v5, v37, s[30:31]
	v_cndmask_b32_e64 v5, v5, v33, s[34:35]
	v_cndmask_b32_e64 v6, v6, v22, s[26:27]
	v_cndmask_b32_e64 v6, v6, v36, s[28:29]
	s_waitcnt vmcnt(4)
	v_accvgpr_read_b32 v32, a12
	scratch_load_dwordx4 a[0:3], off, off offset:2272 ; 16-byte Folded Reload
	scratch_load_dwordx4 a[4:7], off, off offset:2288 ; 16-byte Folded Reload
	scratch_load_dwordx4 a[8:11], off, off offset:2304 ; 16-byte Folded Reload
	scratch_load_dwordx4 a[12:15], off, off offset:2320 ; 16-byte Folded Reload
	scratch_load_dwordx4 a[16:19], off, off offset:2336 ; 16-byte Folded Reload
	scratch_load_dwordx4 a[20:23], off, off offset:2352 ; 16-byte Folded Reload
	scratch_load_dwordx4 a[24:27], off, off offset:2368 ; 16-byte Folded Reload
	scratch_load_dwordx4 a[28:31], off, off offset:2384 ; 16-byte Folded Reload
	v_cndmask_b32_e64 v6, v6, v32, s[30:31]
	s_waitcnt vmcnt(4)
	v_accvgpr_read_b32 v14, a14
	scratch_load_dwordx4 a[0:3], off, off offset:2016 ; 16-byte Folded Reload
	scratch_load_dwordx4 a[4:7], off, off offset:2032 ; 16-byte Folded Reload
	scratch_load_dwordx4 a[8:11], off, off offset:2048 ; 16-byte Folded Reload
	scratch_load_dwordx4 a[12:15], off, off offset:2064 ; 16-byte Folded Reload
	scratch_load_dwordx4 a[16:19], off, off offset:2080 ; 16-byte Folded Reload
	scratch_load_dwordx4 a[20:23], off, off offset:2096 ; 16-byte Folded Reload
	scratch_load_dwordx4 a[24:27], off, off offset:2112 ; 16-byte Folded Reload
	scratch_load_dwordx4 a[28:31], off, off offset:2128 ; 16-byte Folded Reload
	v_cndmask_b32_e64 v6, v6, v14, s[34:35]
	;; [unrolled: 11-line block ×3, first 2 shown]
	v_cndmask_b32_e64 v5, v113, v111, s[4:5]
	v_cndmask_b32_e64 v5, v5, v109, s[6:7]
	;; [unrolled: 1-line block ×8, first 2 shown]
	scratch_load_dword v5, off, off offset:84
	s_waitcnt vmcnt(4)
	v_accvgpr_read_b32 v18, a16
	scratch_load_dwordx4 a[0:3], off, off offset:1888 ; 16-byte Folded Reload
	scratch_load_dwordx4 a[4:7], off, off offset:1904 ; 16-byte Folded Reload
	;; [unrolled: 1-line block ×8, first 2 shown]
	v_cndmask_b32_e64 v8, v6, v18, s[36:37]
	v_cndmask_b32_e64 v6, v112, v110, s[4:5]
	;; [unrolled: 1-line block ×9, first 2 shown]
	v_mul_f64 v[34:35], v[16:17], v[30:31]
	v_fmac_f64_e32 v[34:35], v[8:9], v[28:29]
	s_waitcnt vmcnt(8)
	v_cmp_eq_u32_e64 s[44:45], 6, v5
	v_cmp_eq_u32_e64 s[42:43], 7, v5
	v_cndmask_b32_e64 v8, v179, v117, s[20:21]
	v_cndmask_b32_e64 v13, v32, v34, s[44:45]
	;; [unrolled: 1-line block ×6, first 2 shown]
	v_cmp_eq_u32_e32 vcc, 4, v5
	v_cmp_eq_u32_e64 s[38:39], 3, v5
	v_cmp_eq_u32_e64 s[46:47], 5, v5
	v_cndmask_b32_e32 v42, v22, v34, vcc
	v_cndmask_b32_e64 v45, v21, v35, s[38:39]
	v_cndmask_b32_e64 v22, v178, v116, s[4:5]
	;; [unrolled: 1-line block ×10, first 2 shown]
	v_cndmask_b32_e32 v43, v23, v35, vcc
	v_cndmask_b32_e64 v15, v36, v34, s[46:47]
	v_cndmask_b32_e64 v17, v37, v35, s[44:45]
	;; [unrolled: 1-line block ×4, first 2 shown]
	v_cndmask_b32_e32 v62, v84, v24, vcc
	v_cndmask_b32_e32 v63, v85, v25, vcc
	v_cmp_eq_u32_e64 s[40:41], 8, v5
	v_cndmask_b32_e64 v59, v59, v25, s[42:43]
	v_cndmask_b32_e64 v57, v130, v24, s[46:47]
	;; [unrolled: 1-line block ×3, first 2 shown]
	v_accvgpr_read_b32 v38, a110
	v_cndmask_b32_e64 v26, v26, v38, s[14:15]
	v_cndmask_b32_e64 v6, v18, v34, s[40:41]
	;; [unrolled: 1-line block ×3, first 2 shown]
	v_accvgpr_read_b32 v33, a49
	v_cndmask_b32_e64 v19, v19, v35, s[40:41]
	v_cndmask_b32_e64 v40, v196, v24, s[38:39]
	;; [unrolled: 1-line block ×4, first 2 shown]
	s_waitcnt vmcnt(5)
	v_accvgpr_read_b32 v55, a11
	scratch_load_dwordx4 a[0:3], off, off offset:1760 ; 16-byte Folded Reload
	scratch_load_dwordx4 a[4:7], off, off offset:1776 ; 16-byte Folded Reload
	scratch_load_dwordx4 a[8:11], off, off offset:1792 ; 16-byte Folded Reload
	scratch_load_dwordx4 a[12:15], off, off offset:1808 ; 16-byte Folded Reload
	scratch_load_dwordx4 a[16:19], off, off offset:1824 ; 16-byte Folded Reload
	scratch_load_dwordx4 a[20:23], off, off offset:1840 ; 16-byte Folded Reload
	scratch_load_dwordx4 a[24:27], off, off offset:1856 ; 16-byte Folded Reload
	scratch_load_dwordx4 a[28:31], off, off offset:1872 ; 16-byte Folded Reload
	v_cndmask_b32_e64 v8, v8, v55, s[28:29]
	s_waitcnt vmcnt(4)
	v_accvgpr_read_b32 v53, a13
	scratch_load_dwordx4 a[0:3], off, off offset:1632 ; 16-byte Folded Reload
	scratch_load_dwordx4 a[4:7], off, off offset:1648 ; 16-byte Folded Reload
	scratch_load_dwordx4 a[8:11], off, off offset:1664 ; 16-byte Folded Reload
	scratch_load_dwordx4 a[12:15], off, off offset:1680 ; 16-byte Folded Reload
	scratch_load_dwordx4 a[16:19], off, off offset:1696 ; 16-byte Folded Reload
	scratch_load_dwordx4 a[20:23], off, off offset:1712 ; 16-byte Folded Reload
	scratch_load_dwordx4 a[24:27], off, off offset:1728 ; 16-byte Folded Reload
	scratch_load_dwordx4 a[28:31], off, off offset:1744 ; 16-byte Folded Reload
	v_cndmask_b32_e64 v8, v8, v53, s[30:31]
	s_waitcnt vmcnt(4)
	v_accvgpr_read_b32 v51, a15
	scratch_load_dwordx4 a[0:3], off, off offset:1504 ; 16-byte Folded Reload
	scratch_load_dwordx4 a[4:7], off, off offset:1520 ; 16-byte Folded Reload
	scratch_load_dwordx4 a[8:11], off, off offset:1536 ; 16-byte Folded Reload
	scratch_load_dwordx4 a[12:15], off, off offset:1552 ; 16-byte Folded Reload
	scratch_load_dwordx4 a[16:19], off, off offset:1568 ; 16-byte Folded Reload
	scratch_load_dwordx4 a[20:23], off, off offset:1584 ; 16-byte Folded Reload
	scratch_load_dwordx4 a[24:27], off, off offset:1600 ; 16-byte Folded Reload
	scratch_load_dwordx4 a[28:31], off, off offset:1616 ; 16-byte Folded Reload
	v_cndmask_b32_e64 v8, v8, v51, s[34:35]
	s_waitcnt vmcnt(5)
	v_accvgpr_read_b32 v32, a10
	scratch_load_dwordx4 a[0:3], off, off offset:1376 ; 16-byte Folded Reload
	scratch_load_dwordx4 a[4:7], off, off offset:1392 ; 16-byte Folded Reload
	scratch_load_dwordx4 a[8:11], off, off offset:1408 ; 16-byte Folded Reload
	scratch_load_dwordx4 a[12:15], off, off offset:1424 ; 16-byte Folded Reload
	scratch_load_dwordx4 a[16:19], off, off offset:1440 ; 16-byte Folded Reload
	scratch_load_dwordx4 a[20:23], off, off offset:1456 ; 16-byte Folded Reload
	scratch_load_dwordx4 a[24:27], off, off offset:1472 ; 16-byte Folded Reload
	scratch_load_dwordx4 a[28:31], off, off offset:1488 ; 16-byte Folded Reload
	v_cndmask_b32_e64 v22, v22, v32, s[12:13]
	v_cndmask_b32_e64 v20, v20, v32, s[28:29]
	s_waitcnt vmcnt(4)
	v_accvgpr_read_b32 v14, a12
	scratch_load_dwordx4 a[0:3], off, off offset:1248 ; 16-byte Folded Reload
	scratch_load_dwordx4 a[4:7], off, off offset:1264 ; 16-byte Folded Reload
	;; [unrolled: 1-line block ×8, first 2 shown]
	v_cndmask_b32_e64 v22, v22, v14, s[14:15]
	v_cndmask_b32_e64 v20, v20, v14, s[30:31]
	;; [unrolled: 1-line block ×6, first 2 shown]
	s_waitcnt vmcnt(3)
	v_accvgpr_read_b32 v47, a17
	v_cndmask_b32_e64 v21, v8, v47, s[36:37]
	v_cndmask_b32_e64 v8, v179, v117, s[4:5]
	;; [unrolled: 1-line block ×9, first 2 shown]
	v_mul_f64 v[36:37], v[22:23], v[30:31]
	v_fmac_f64_e32 v[36:37], v[20:21], v[28:29]
	v_cndmask_b32_e64 v22, v90, v36, s[42:43]
	v_cndmask_b32_e64 v50, v53, v37, s[44:45]
	v_cndmask_b32_e32 v52, v94, v36, vcc
	v_cndmask_b32_e32 v53, v95, v37, vcc
	scratch_load_dwordx4 v[76:79], off, off offset:2656 ; 16-byte Folded Reload
	scratch_load_dwordx4 v[80:83], off, off offset:2672 ; 16-byte Folded Reload
	;; [unrolled: 1-line block ×8, first 2 shown]
	v_cndmask_b32_e64 v8, v189, v175, s[4:5]
	v_cndmask_b32_e64 v8, v8, v187, s[6:7]
	;; [unrolled: 1-line block ×14, first 2 shown]
	v_accvgpr_read_b32 v39, a159
	v_accvgpr_read_b32 v14, a96
	v_cndmask_b32_e64 v20, v32, v36, s[46:47]
	v_cndmask_b32_e64 v8, v8, v39, s[16:17]
	;; [unrolled: 1-line block ×11, first 2 shown]
	v_cmp_eq_u32_e64 s[4:5], 2, v5
	v_cmp_eq_u32_e64 s[6:7], 2, v4
	;; [unrolled: 1-line block ×3, first 2 shown]
	s_waitcnt vmcnt(7)
	v_cndmask_b32_e64 v76, v109, v35, s[4:5]
	v_cndmask_b32_e64 v79, v114, v36, s[4:5]
	s_waitcnt vmcnt(6)
	v_cndmask_b32_e64 v82, v115, v37, s[4:5]
	s_waitcnt vmcnt(5)
	;; [unrolled: 2-line block ×3, first 2 shown]
	v_cndmask_b32_e64 v89, v181, v25, s[4:5]
	v_cmp_eq_u32_e64 s[10:11], 4, v4
	v_cmp_eq_u32_e64 s[12:13], 5, v4
	;; [unrolled: 1-line block ×4, first 2 shown]
	v_cndmask_b32_e64 v48, v120, v36, s[38:39]
	v_cndmask_b32_e64 v49, v121, v37, s[38:39]
	s_waitcnt vmcnt(3)
	v_mov_b32_e32 v32, v92
	v_cndmask_b32_e64 v26, v26, v32, s[18:19]
	v_mul_f64 v[26:27], v[26:27], v[30:31]
	v_cndmask_b32_e64 v30, v188, v174, s[20:21]
	v_cndmask_b32_e64 v30, v30, v186, s[22:23]
	;; [unrolled: 1-line block ×9, first 2 shown]
	v_fmac_f64_e32 v[26:27], v[30:31], v[28:29]
	v_lshlrev_b32_e32 v8, 2, v5
	v_mov_b32_e32 v28, 0
	v_add3_u32 v8, v28, v8, 40
	scratch_load_dword v8, v8, off
	v_cndmask_b32_e64 v65, v38, v26, s[44:45]
	v_cndmask_b32_e64 v64, v32, v26, s[40:41]
	;; [unrolled: 1-line block ×5, first 2 shown]
	v_cmp_eq_u32_e64 s[40:41], 1, v5
	v_cmp_eq_u32_e64 s[42:43], 0, v5
	s_waitcnt vmcnt(2)
	v_cndmask_b32_e64 v101, v71, v27, s[46:47]
	v_cndmask_b32_e64 v71, v108, v34, s[4:5]
	;; [unrolled: 1-line block ×8, first 2 shown]
	v_cmp_eq_u32_e64 s[4:5], 1, v4
	v_cmp_eq_u32_e64 s[18:19], 8, v4
	;; [unrolled: 1-line block ×3, first 2 shown]
	v_cndmask_b32_e64 v24, v91, v90, s[4:5]
	v_cndmask_b32_e64 v4, v88, v87, s[4:5]
	;; [unrolled: 1-line block ×17, first 2 shown]
	v_cmp_eq_u32_e64 s[22:23], 2, v12
	v_cmp_eq_u32_e64 s[24:25], 3, v12
	;; [unrolled: 1-line block ×3, first 2 shown]
	v_cndmask_b32_e64 v4, v4, v89, s[22:23]
	v_cndmask_b32_e64 v4, v4, v41, s[24:25]
	;; [unrolled: 1-line block ×3, first 2 shown]
	v_cmp_eq_u32_e64 s[28:29], 5, v12
	v_cmp_eq_u32_e64 s[30:31], 6, v12
	;; [unrolled: 1-line block ×3, first 2 shown]
	v_cndmask_b32_e64 v4, v4, v61, s[28:29]
	v_cndmask_b32_e64 v4, v4, v60, s[30:31]
	;; [unrolled: 1-line block ×3, first 2 shown]
	v_cmp_eq_u32_e64 s[36:37], 8, v12
	v_cndmask_b32_e64 v72, v110, v34, s[40:41]
	v_cndmask_b32_e64 v73, v112, v34, s[42:43]
	;; [unrolled: 1-line block ×11, first 2 shown]
	v_add_f64 v[32:33], v[30:31], -v[24:25]
	v_cndmask_b32_e64 v77, v111, v35, s[40:41]
	v_cndmask_b32_e64 v78, v113, v35, s[42:43]
	;; [unrolled: 1-line block ×10, first 2 shown]
	v_cndmask_b32_e32 v92, v118, v26, vcc
	v_cndmask_b32_e64 v96, v174, v26, s[40:41]
	v_cndmask_b32_e64 v97, v188, v26, s[42:43]
	v_cndmask_b32_e32 v98, v119, v27, vcc
	v_cndmask_b32_e64 v4, v175, v27, s[40:41]
	v_cndmask_b32_e64 v100, v189, v27, s[42:43]
	s_waitcnt vmcnt(0)
	v_lshlrev_b32_e32 v29, 2, v8
	v_add3_u32 v28, v28, v29, 40
	scratch_load_dword v38, v28, off
	v_add_f64 v[28:29], -v[24:25], 0
	v_div_scale_f64 v[34:35], s[38:39], v[32:33], v[32:33], v[28:29]
	v_rcp_f64_e32 v[36:37], v[34:35]
	v_cmp_eq_u32_e64 s[38:39], 3, v8
	v_cmp_eq_u32_e64 s[40:41], 2, v8
	;; [unrolled: 1-line block ×3, first 2 shown]
	v_fma_f64 v[26:27], -v[34:35], v[36:37], 1.0
	v_fmac_f64_e32 v[36:37], v[36:37], v[26:27]
	v_fma_f64 v[26:27], -v[34:35], v[36:37], 1.0
	v_fmac_f64_e32 v[36:37], v[36:37], v[26:27]
	v_div_scale_f64 v[26:27], vcc, v[28:29], v[32:33], v[28:29]
	v_cmp_eq_u32_e64 s[44:45], 0, v8
	s_waitcnt vmcnt(0)
	scratch_store_dword off, v38, off offset:84
	v_mul_f64 v[38:39], v[26:27], v[36:37]
	v_fma_f64 v[26:27], -v[34:35], v[38:39], v[26:27]
	v_div_fmas_f64 v[26:27], v[26:27], v[36:37], v[38:39]
	v_div_fixup_f64 v[26:27], v[26:27], v[32:33], v[28:29]
	v_cndmask_b32_e64 v32, v78, v77, s[4:5]
	v_cndmask_b32_e64 v28, v78, v77, s[20:21]
	;; [unrolled: 1-line block ×31, first 2 shown]
	v_add_f64 v[34:35], -v[26:27], 1.0
	v_cndmask_b32_e64 v28, v28, v6, s[36:37]
	v_mul_f64 v[36:37], v[32:33], v[34:35]
	v_fmac_f64_e32 v[36:37], v[28:29], v[26:27]
	v_cmp_eq_u32_e32 vcc, 4, v8
	s_nop 1
	v_cndmask_b32_e32 v29, v43, v37, vcc
	v_cndmask_b32_e32 v28, v42, v36, vcc
	scratch_store_dwordx4 off, v[20:23], off offset:96 ; 16-byte Folded Spill
	s_nop 0
	scratch_store_dwordx4 off, v[24:27], off offset:112 ; 16-byte Folded Spill
	scratch_store_dwordx4 off, v[28:31], off offset:128 ; 16-byte Folded Spill
	;; [unrolled: 1-line block ×7, first 2 shown]
	v_cndmask_b32_e64 v29, v45, v37, s[38:39]
	v_cndmask_b32_e64 v28, v44, v36, s[38:39]
	scratch_store_dwordx4 off, v[22:25], off offset:224 ; 16-byte Folded Spill
	s_nop 0
	scratch_store_dwordx4 off, v[26:29], off offset:240 ; 16-byte Folded Spill
	scratch_store_dwordx4 off, v[30:33], off offset:256 ; 16-byte Folded Spill
	;; [unrolled: 1-line block ×7, first 2 shown]
	v_cndmask_b32_e64 v32, v84, v83, s[4:5]
	v_cndmask_b32_e64 v28, v84, v83, s[20:21]
	;; [unrolled: 1-line block ×31, first 2 shown]
	v_mul_f64 v[24:25], v[24:25], v[34:35]
	v_cndmask_b32_e64 v28, v28, v23, s[36:37]
	v_mul_f64 v[38:39], v[32:33], v[34:35]
	v_fmac_f64_e32 v[24:25], v[30:31], v[26:27]
	v_cndmask_b32_e64 v30, v100, v4, s[4:5]
	v_fmac_f64_e32 v[38:39], v[28:29], v[26:27]
	v_cndmask_b32_e64 v28, v100, v4, s[20:21]
	v_cndmask_b32_e64 v30, v30, v99, s[6:7]
	;; [unrolled: 1-line block ×31, first 2 shown]
	v_mul_f64 v[30:31], v[30:31], v[34:35]
	v_cmp_eq_u32_e64 s[8:9], 8, v8
	v_fmac_f64_e32 v[30:31], v[28:29], v[26:27]
	v_cndmask_b32_e32 v95, v53, v39, vcc
	v_cndmask_b32_e64 v19, v19, v37, s[8:9]
	v_cndmask_b32_e32 v94, v52, v38, vcc
	v_cndmask_b32_e64 v179, v84, v39, s[44:45]
	v_cndmask_b32_e32 v85, v63, v25, vcc
	v_cndmask_b32_e32 v84, v62, v24, vcc
	v_cndmask_b32_e64 v197, v41, v25, s[38:39]
	v_cndmask_b32_e64 v196, v40, v24, s[38:39]
	;; [unrolled: 1-line block ×8, first 2 shown]
	v_cndmask_b32_e32 v119, v98, v31, vcc
	v_cndmask_b32_e32 v118, v92, v30, vcc
	v_cndmask_b32_e64 v229, v75, v31, s[38:39]
	v_cndmask_b32_e64 v228, v70, v30, s[38:39]
	;; [unrolled: 1-line block ×8, first 2 shown]
	v_cmp_eq_u32_e32 vcc, 7, v8
	v_cmp_eq_u32_e64 s[4:5], 6, v8
	v_cmp_eq_u32_e64 s[6:7], 5, v8
	scratch_store_dwordx4 off, v[2:5], off offset:2016 ; 16-byte Folded Spill
	s_nop 0
	scratch_store_dwordx4 off, v[6:9], off offset:2032 ; 16-byte Folded Spill
	scratch_store_dwordx4 off, v[10:13], off offset:2048 ; 16-byte Folded Spill
	;; [unrolled: 1-line block ×7, first 2 shown]
	v_cndmask_b32_e64 v109, v76, v37, s[40:41]
	v_cndmask_b32_e64 v108, v71, v36, s[40:41]
	;; [unrolled: 1-line block ×14, first 2 shown]
	scratch_store_dwordx4 off, v[10:13], off offset:2144 ; 16-byte Folded Spill
	s_nop 0
	scratch_store_dwordx4 off, v[14:17], off offset:2160 ; 16-byte Folded Spill
	scratch_store_dwordx4 off, v[18:21], off offset:2176 ; 16-byte Folded Spill
	;; [unrolled: 1-line block ×7, first 2 shown]
	v_cndmask_b32_e32 v19, v18, v37, vcc
	v_cndmask_b32_e32 v18, v9, v36, vcc
	v_accvgpr_write_b32 a127, v19
	scratch_store_dwordx4 off, v[4:7], off offset:2272 ; 16-byte Folded Spill
	s_nop 0
	scratch_store_dwordx4 off, v[8:11], off offset:2288 ; 16-byte Folded Spill
	scratch_store_dwordx4 off, v[12:15], off offset:2304 ; 16-byte Folded Spill
	;; [unrolled: 1-line block ×7, first 2 shown]
	v_cndmask_b32_e64 v17, v17, v37, s[4:5]
	v_cndmask_b32_e64 v18, v13, v36, s[4:5]
	v_accvgpr_write_b32 a229, v17
	scratch_store_dwordx4 off, v[6:9], off offset:2400 ; 16-byte Folded Spill
	s_nop 0
	scratch_store_dwordx4 off, v[10:13], off offset:2416 ; 16-byte Folded Spill
	scratch_store_dwordx4 off, v[14:17], off offset:2432 ; 16-byte Folded Spill
	scratch_store_dwordx4 off, v[18:21], off offset:2448 ; 16-byte Folded Spill
	scratch_store_dwordx4 off, v[22:25], off offset:2464 ; 16-byte Folded Spill
	scratch_store_dwordx4 off, v[26:29], off offset:2480 ; 16-byte Folded Spill
	scratch_store_dwordx4 off, v[30:33], off offset:2496 ; 16-byte Folded Spill
	scratch_store_dwordx4 off, v[34:37], off offset:2512 ; 16-byte Folded Spill
	v_cndmask_b32_e64 v13, v16, v37, s[6:7]
	v_mov_b32_e32 v16, v74
	v_cndmask_b32_e64 v18, v15, v36, s[6:7]
	v_accvgpr_write_b32 a197, v13
	scratch_store_dwordx4 off, v[8:11], off offset:2528 ; 16-byte Folded Spill
	s_nop 0
	scratch_store_dwordx4 off, v[12:15], off offset:2544 ; 16-byte Folded Spill
	scratch_store_dwordx4 off, v[16:19], off offset:2560 ; 16-byte Folded Spill
	scratch_store_dwordx4 off, v[20:23], off offset:2576 ; 16-byte Folded Spill
	scratch_store_dwordx4 off, v[24:27], off offset:2592 ; 16-byte Folded Spill
	scratch_store_dwordx4 off, v[28:31], off offset:2608 ; 16-byte Folded Spill
	scratch_store_dwordx4 off, v[32:35], off offset:2624 ; 16-byte Folded Spill
	scratch_store_dwordx4 off, v[36:39], off offset:2640 ; 16-byte Folded Spill
	v_cndmask_b32_e64 v17, v46, v39, s[8:9]
	scratch_store_dwordx4 off, v[0:3], off offset:1248 ; 16-byte Folded Spill
	s_nop 0
	scratch_store_dwordx4 off, v[4:7], off offset:1264 ; 16-byte Folded Spill
	scratch_store_dwordx4 off, v[8:11], off offset:1280 ; 16-byte Folded Spill
	;; [unrolled: 1-line block ×7, first 2 shown]
	v_cndmask_b32_e32 v15, v47, v39, vcc
	v_cndmask_b32_e64 v18, v23, v38, s[8:9]
	v_accvgpr_write_b32 a32, v18
	scratch_store_dwordx4 off, v[0:3], off offset:1632 ; 16-byte Folded Spill
	s_nop 0
	scratch_store_dwordx4 off, v[4:7], off offset:1648 ; 16-byte Folded Spill
	scratch_store_dwordx4 off, v[8:11], off offset:1664 ; 16-byte Folded Spill
	;; [unrolled: 1-line block ×7, first 2 shown]
	v_cndmask_b32_e64 v13, v50, v39, s[4:5]
	v_cndmask_b32_e32 v90, v22, v38, vcc
	scratch_store_dwordx4 off, v[0:3], off offset:1760 ; 16-byte Folded Spill
	s_nop 0
	scratch_store_dwordx4 off, v[4:7], off offset:1776 ; 16-byte Folded Spill
	scratch_store_dwordx4 off, v[8:11], off offset:1792 ; 16-byte Folded Spill
	scratch_store_dwordx4 off, v[12:15], off offset:1808 ; 16-byte Folded Spill
	scratch_store_dwordx4 off, v[16:19], off offset:1824 ; 16-byte Folded Spill
	scratch_store_dwordx4 off, v[20:23], off offset:1840 ; 16-byte Folded Spill
	scratch_store_dwordx4 off, v[24:27], off offset:1856 ; 16-byte Folded Spill
	scratch_store_dwordx4 off, v[28:31], off offset:1872 ; 16-byte Folded Spill
	v_cndmask_b32_e64 v18, v21, v38, s[4:5]
	scratch_store_dwordx4 off, v[6:9], off offset:1376 ; 16-byte Folded Spill
	s_nop 0
	scratch_store_dwordx4 off, v[10:13], off offset:1392 ; 16-byte Folded Spill
	scratch_store_dwordx4 off, v[14:17], off offset:1408 ; 16-byte Folded Spill
	scratch_store_dwordx4 off, v[18:21], off offset:1424 ; 16-byte Folded Spill
	scratch_store_dwordx4 off, v[22:25], off offset:1440 ; 16-byte Folded Spill
	scratch_store_dwordx4 off, v[26:29], off offset:1456 ; 16-byte Folded Spill
	scratch_store_dwordx4 off, v[30:33], off offset:1472 ; 16-byte Folded Spill
	scratch_store_dwordx4 off, v[34:37], off offset:1488 ; 16-byte Folded Spill
	v_cndmask_b32_e64 v13, v51, v39, s[6:7]
	;; [unrolled: 10-line block ×5, first 2 shown]
	scratch_store_dwordx4 off, v[2:5], off offset:480 ; 16-byte Folded Spill
	s_nop 0
	scratch_store_dwordx4 off, v[6:9], off offset:496 ; 16-byte Folded Spill
	scratch_store_dwordx4 off, v[10:13], off offset:512 ; 16-byte Folded Spill
	scratch_store_dwordx4 off, v[14:17], off offset:528 ; 16-byte Folded Spill
	scratch_store_dwordx4 off, v[18:21], off offset:544 ; 16-byte Folded Spill
	scratch_store_dwordx4 off, v[22:25], off offset:560 ; 16-byte Folded Spill
	scratch_store_dwordx4 off, v[26:29], off offset:576 ; 16-byte Folded Spill
	scratch_store_dwordx4 off, v[30:33], off offset:592 ; 16-byte Folded Spill
	v_cndmask_b32_e32 v15, v59, v25, vcc
	scratch_store_dwordx4 off, v[0:3], off offset:992 ; 16-byte Folded Spill
	s_nop 0
	scratch_store_dwordx4 off, v[4:7], off offset:1008 ; 16-byte Folded Spill
	scratch_store_dwordx4 off, v[8:11], off offset:1024 ; 16-byte Folded Spill
	;; [unrolled: 1-line block ×7, first 2 shown]
	v_cndmask_b32_e32 v18, v55, v24, vcc
	scratch_store_dwordx4 off, v[4:7], off offset:864 ; 16-byte Folded Spill
	s_nop 0
	scratch_store_dwordx4 off, v[8:11], off offset:880 ; 16-byte Folded Spill
	scratch_store_dwordx4 off, v[12:15], off offset:896 ; 16-byte Folded Spill
	scratch_store_dwordx4 off, v[16:19], off offset:912 ; 16-byte Folded Spill
	scratch_store_dwordx4 off, v[20:23], off offset:928 ; 16-byte Folded Spill
	scratch_store_dwordx4 off, v[24:27], off offset:944 ; 16-byte Folded Spill
	scratch_store_dwordx4 off, v[28:31], off offset:960 ; 16-byte Folded Spill
	scratch_store_dwordx4 off, v[32:35], off offset:976 ; 16-byte Folded Spill
	v_cndmask_b32_e64 v13, v60, v25, s[4:5]
	scratch_store_dwordx4 off, v[0:3], off offset:736 ; 16-byte Folded Spill
	s_nop 0
	scratch_store_dwordx4 off, v[4:7], off offset:752 ; 16-byte Folded Spill
	scratch_store_dwordx4 off, v[8:11], off offset:768 ; 16-byte Folded Spill
	scratch_store_dwordx4 off, v[12:15], off offset:784 ; 16-byte Folded Spill
	scratch_store_dwordx4 off, v[16:19], off offset:800 ; 16-byte Folded Spill
	scratch_store_dwordx4 off, v[20:23], off offset:816 ; 16-byte Folded Spill
	scratch_store_dwordx4 off, v[24:27], off offset:832 ; 16-byte Folded Spill
	scratch_store_dwordx4 off, v[28:31], off offset:848 ; 16-byte Folded Spill
	v_cndmask_b32_e64 v18, v56, v24, s[4:5]
	;; [unrolled: 10-line block ×4, first 2 shown]
	v_cndmask_b32_e64 v18, v64, v30, s[8:9]
	v_cndmask_b32_e64 v130, v57, v24, s[6:7]
	v_accvgpr_write_b32 a49, v17
	scratch_store_dwordx4 off, v[2:5], off offset:2656 ; 16-byte Folded Spill
	s_nop 0
	scratch_store_dwordx4 off, v[6:9], off offset:2672 ; 16-byte Folded Spill
	scratch_store_dwordx4 off, v[10:13], off offset:2688 ; 16-byte Folded Spill
	;; [unrolled: 1-line block ×7, first 2 shown]
	v_cndmask_b32_e32 v14, v14, v30, vcc
	v_cndmask_b32_e64 v13, v69, v31, s[4:5]
	v_cndmask_b32_e32 v15, v68, v31, vcc
	v_accvgpr_write_b32 a96, v14
	v_accvgpr_write_b32 a173, v13
	v_cndmask_b32_e64 v14, v65, v30, s[4:5]
	v_cndmask_b32_e64 v13, v101, v31, s[6:7]
	v_accvgpr_write_b32 a159, v15
	v_accvgpr_write_b32 a110, v14
	;; [unrolled: 1-line block ×3, first 2 shown]
	v_cndmask_b32_e64 v152, v66, v30, s[6:7]
.LBB4_61:
	s_or_b64 exec, exec, s[52:53]
	scratch_store_dword off, v7, off offset:80
	s_mov_b64 s[16:17], exec
	s_and_b64 s[4:5], s[16:17], s[0:1]
	v_accvgpr_read_b32 v29, a159
	v_accvgpr_read_b32 v31, a173
	s_waitcnt vmcnt(3)
	v_accvgpr_read_b32 v39, a185
	s_mov_b64 exec, s[4:5]
	s_cbranch_execz .LBB4_70
; %bb.62:
	s_mov_b64 s[18:19], 0
	s_branch .LBB4_64
.LBB4_63:                               ;   in Loop: Header=BB4_64 Depth=1
	s_or_b64 exec, exec, s[6:7]
	s_waitcnt vmcnt(0)
	v_cmp_gt_i32_e32 vcc, 0, v4
	s_or_b64 s[18:19], vcc, s[18:19]
	v_mov_b32_e32 v10, v4
	s_andn2_b64 exec, exec, s[18:19]
	s_cbranch_execz .LBB4_70
.LBB4_64:                               ; =>This Inner Loop Header: Depth=1
	scratch_load_dwordx4 v[18:21], off, off offset:1120 ; 16-byte Folded Reload
	scratch_load_dwordx4 v[22:25], off, off offset:1136 ; 16-byte Folded Reload
	;; [unrolled: 1-line block ×8, first 2 shown]
	v_cmp_eq_u32_e32 vcc, 1, v10
	v_cmp_eq_u32_e64 s[4:5], 2, v10
	v_cmp_eq_u32_e64 s[6:7], 3, v10
	v_cndmask_b32_e32 v4, v255, v185, vcc
	v_cndmask_b32_e64 v4, v4, v181, s[4:5]
	v_cndmask_b32_e64 v4, v4, v197, s[6:7]
	v_cmp_eq_u32_e64 s[8:9], 4, v10
	v_cmp_eq_u32_e64 s[10:11], 5, v10
	;; [unrolled: 1-line block ×3, first 2 shown]
	v_cndmask_b32_e64 v4, v4, v85, s[8:9]
	v_cmp_eq_u32_e64 s[14:15], 7, v10
	v_cndmask_b32_e32 v6, v254, v184, vcc
	v_cndmask_b32_e64 v6, v6, v180, s[4:5]
	v_cndmask_b32_e64 v6, v6, v196, s[6:7]
	;; [unrolled: 1-line block ×4, first 2 shown]
	v_cmp_eq_u32_e32 vcc, 8, v10
	s_mov_b64 s[4:5], 0
	s_waitcnt vmcnt(5)
	v_cndmask_b32_e64 v4, v4, v29, s[10:11]
	scratch_load_dwordx4 v[18:21], off, off offset:736 ; 16-byte Folded Reload
	scratch_load_dwordx4 v[22:25], off, off offset:752 ; 16-byte Folded Reload
	scratch_load_dwordx4 v[26:29], off, off offset:768 ; 16-byte Folded Reload
	scratch_load_dwordx4 v[30:33], off, off offset:784 ; 16-byte Folded Reload
	scratch_load_dwordx4 v[34:37], off, off offset:800 ; 16-byte Folded Reload
	scratch_load_dwordx4 v[38:41], off, off offset:816 ; 16-byte Folded Reload
	scratch_load_dwordx4 v[42:45], off, off offset:832 ; 16-byte Folded Reload
	scratch_load_dwordx4 v[46:49], off, off offset:848 ; 16-byte Folded Reload
	s_waitcnt vmcnt(4)
	v_cndmask_b32_e64 v4, v4, v31, s[12:13]
	scratch_load_dwordx4 v[18:21], off, off offset:992 ; 16-byte Folded Reload
	scratch_load_dwordx4 v[22:25], off, off offset:1008 ; 16-byte Folded Reload
	scratch_load_dwordx4 v[26:29], off, off offset:1024 ; 16-byte Folded Reload
	scratch_load_dwordx4 v[30:33], off, off offset:1040 ; 16-byte Folded Reload
	scratch_load_dwordx4 v[34:37], off, off offset:1056 ; 16-byte Folded Reload
	scratch_load_dwordx4 v[38:41], off, off offset:1072 ; 16-byte Folded Reload
	scratch_load_dwordx4 v[42:45], off, off offset:1088 ; 16-byte Folded Reload
	scratch_load_dwordx4 v[46:49], off, off offset:1104 ; 16-byte Folded Reload
	;; [unrolled: 10-line block ×5, first 2 shown]
	s_waitcnt vmcnt(3)
	v_cndmask_b32_e32 v7, v4, v35, vcc
	scratch_load_dwordx4 v[18:21], off, off offset:480 ; 16-byte Folded Reload
	scratch_load_dwordx4 v[22:25], off, off offset:496 ; 16-byte Folded Reload
	;; [unrolled: 1-line block ×8, first 2 shown]
	s_waitcnt vmcnt(3)
	v_cndmask_b32_e32 v6, v6, v34, vcc
	v_cmp_ngt_f64_e32 vcc, 0, v[6:7]
	v_lshl_add_u32 v7, v10, 2, v16
	scratch_load_dword v4, v7, off
                                        ; implicit-def: $vgpr6
	s_and_saveexec_b64 s[6:7], vcc
	s_xor_b64 s[6:7], exec, s[6:7]
	s_cbranch_execz .LBB4_66
; %bb.65:                               ;   in Loop: Header=BB4_64 Depth=1
	scratch_load_dword v6, off, off offset:80
                                        ; implicit-def: $vgpr7
	s_waitcnt vmcnt(0)
	v_cmp_eq_u32_e32 vcc, -1, v6
	v_mov_b32_e32 v6, 0x50
	s_and_b64 s[4:5], vcc, exec
.LBB4_66:                               ;   in Loop: Header=BB4_64 Depth=1
	s_andn2_saveexec_b64 s[6:7], s[6:7]
	s_cbranch_execz .LBB4_68
; %bb.67:                               ;   in Loop: Header=BB4_64 Depth=1
	scratch_load_dword v9, off, off offset:84
	v_mov_b32_e32 v6, 0x54
	s_or_b64 s[4:5], s[4:5], exec
	s_waitcnt vmcnt(0)
	scratch_store_dword v7, v9, off
.LBB4_68:                               ;   in Loop: Header=BB4_64 Depth=1
	s_or_b64 exec, exec, s[6:7]
	s_mov_b64 s[6:7], exec
	s_and_b64 s[4:5], s[6:7], s[4:5]
	v_accvgpr_read_b32 v29, a159
	v_accvgpr_read_b32 v31, a173
	s_waitcnt vmcnt(3)
	v_accvgpr_read_b32 v39, a185
	s_mov_b64 exec, s[4:5]
	s_cbranch_execz .LBB4_63
; %bb.69:                               ;   in Loop: Header=BB4_64 Depth=1
	scratch_store_dword v6, v10, off
	s_branch .LBB4_63
.LBB4_70:
	s_or_b64 exec, exec, s[16:17]
	s_and_saveexec_b64 s[4:5], s[2:3]
	s_cbranch_execz .LBB4_72
; %bb.71:
	v_cmp_gt_f64_e32 vcc, 0, v[0:1]
	v_lshlrev_b32_e32 v0, 2, v11
	v_mov_b32_e32 v1, 0
	v_cmp_gt_f64_e64 s[2:3], 0, v[2:3]
	s_and_b64 s[0:1], s[0:1], vcc
	v_add3_u32 v0, v1, v0, 40
	v_lshlrev_b32_e32 v4, 2, v5
	s_or_b64 s[0:1], s[2:3], s[0:1]
	v_lshlrev_b32_e32 v3, 2, v8
	v_add3_u32 v4, v1, v4, 40
	v_cndmask_b32_e64 v2, v12, -1, s[0:1]
	v_add3_u32 v1, v1, v3, 40
	scratch_store_dword v0, v5, off
	scratch_store_dword v4, v8, off
	;; [unrolled: 1-line block ×3, first 2 shown]
.LBB4_72:
	s_or_b64 exec, exec, s[4:5]
	scratch_load_dwordx4 v[0:3], off, off offset:40
	scratch_load_dwordx4 v[4:7], off, off offset:56
	v_accvgpr_read_b32 v12, a110
	v_accvgpr_read_b32 v14, a96
	;; [unrolled: 1-line block ×3, first 2 shown]
	v_mov_b32_e32 v10, -1
	v_mov_b32_e32 v11, -1
	s_waitcnt vmcnt(1)
	scratch_store_dwordx4 off, v[0:3], off
	s_waitcnt vmcnt(1)
	scratch_store_dwordx4 off, v[4:7], off offset:16
	scratch_load_dword v0, off, off offset:72
	scratch_load_dword v36, off, off offset:80
	v_mov_b64_e32 v[4:5], -1
	v_mov_b64_e32 v[6:7], v[4:5]
	s_waitcnt vmcnt(1)
	scratch_store_dword off, v0, off offset:32
	scratch_load_dwordx4 v[40:43], off, off offset:2656 ; 16-byte Folded Reload
	scratch_load_dwordx4 v[44:47], off, off offset:2672 ; 16-byte Folded Reload
	;; [unrolled: 1-line block ×8, first 2 shown]
	scratch_load_dword v37, off, off offset:84
	s_waitcnt vmcnt(10)
	v_cmp_eq_u32_e32 vcc, 1, v36
	v_cmp_eq_u32_e64 s[0:1], 2, v36
	v_cmp_eq_u32_e64 s[2:3], 3, v36
	v_cndmask_b32_e32 v0, v189, v175, vcc
	v_cndmask_b32_e32 v1, v188, v174, vcc
	v_cndmask_b32_e64 v0, v0, v187, s[0:1]
	v_cndmask_b32_e64 v1, v1, v186, s[0:1]
	;; [unrolled: 1-line block ×3, first 2 shown]
	v_cmp_eq_u32_e32 vcc, 4, v36
	v_cndmask_b32_e64 v1, v1, v228, s[2:3]
	v_cmp_eq_u32_e64 s[0:1], 5, v36
	v_cndmask_b32_e32 v0, v0, v119, vcc
	v_cndmask_b32_e32 v1, v1, v118, vcc
	v_cndmask_b32_e64 v0, v0, v39, s[0:1]
	v_cmp_eq_u32_e32 vcc, 6, v36
	v_cndmask_b32_e64 v1, v1, v152, s[0:1]
	v_cmp_eq_u32_e64 s[0:1], 7, v36
	v_cndmask_b32_e32 v0, v0, v31, vcc
	v_cndmask_b32_e32 v1, v1, v12, vcc
	v_cndmask_b32_e64 v0, v0, v29, s[0:1]
	v_cndmask_b32_e64 v1, v1, v14, s[0:1]
	v_cmp_eq_u32_e32 vcc, 8, v36
	v_cmp_lt_i32_e64 s[0:1], -1, v36
	scratch_store_dword off, v36, off offset:88
	v_cndmask_b32_e32 v3, v0, v17, vcc
	s_waitcnt vmcnt(5)
	v_cndmask_b32_e32 v2, v1, v56, vcc
	v_mov_b64_e32 v[0:1], 0
	s_waitcnt vmcnt(1)
	scratch_store_dword off, v37, off offset:92
	s_and_saveexec_b64 s[10:11], s[0:1]
	s_cbranch_execz .LBB4_76
; %bb.73:
	scratch_load_dwordx4 v[40:43], off, off offset:2656 ; 16-byte Folded Reload
	scratch_load_dwordx4 v[44:47], off, off offset:2672 ; 16-byte Folded Reload
	scratch_load_dwordx4 v[48:51], off, off offset:2688 ; 16-byte Folded Reload
	scratch_load_dwordx4 v[52:55], off, off offset:2704 ; 16-byte Folded Reload
	scratch_load_dwordx4 v[56:59], off, off offset:2720 ; 16-byte Folded Reload
	scratch_load_dwordx4 v[60:63], off, off offset:2736 ; 16-byte Folded Reload
	scratch_load_dwordx4 v[64:67], off, off offset:2752 ; 16-byte Folded Reload
	scratch_load_dwordx4 v[68:71], off, off offset:2768 ; 16-byte Folded Reload
	s_mov_b64 s[12:13], 0
	v_mov_b32_e32 v10, -1
	v_mov_b32_e32 v5, v36
	v_mov_b32_e32 v4, -1
	v_mov_b32_e32 v6, -1
	;; [unrolled: 1-line block ×3, first 2 shown]
	v_mov_b64_e32 v[8:9], v[2:3]
	v_accvgpr_read_b32 v17, a49
	v_accvgpr_read_b32 v14, a96
	;; [unrolled: 1-line block ×3, first 2 shown]
	s_waitcnt vmcnt(3)
	v_mov_b32_e32 v18, v56
.LBB4_74:                               ; =>This Inner Loop Header: Depth=1
	v_lshl_add_u32 v0, v5, 2, v16
	scratch_load_dword v7, v0, off
	s_waitcnt vmcnt(0)
	v_cmp_gt_i32_e32 vcc, 0, v7
	s_nop 1
	v_cndmask_b32_e32 v15, v7, v36, vcc
	v_cmp_eq_u32_e64 s[2:3], 1, v15
	v_cmp_eq_u32_e64 s[4:5], 2, v15
	v_cmp_eq_u32_e64 s[6:7], 3, v15
	v_cndmask_b32_e64 v0, v189, v175, s[2:3]
	v_cndmask_b32_e64 v1, v188, v174, s[2:3]
	;; [unrolled: 1-line block ×5, first 2 shown]
	v_cmp_eq_u32_e64 s[2:3], 4, v15
	v_cndmask_b32_e64 v1, v1, v228, s[6:7]
	v_cmp_eq_u32_e64 s[4:5], 5, v15
	v_cndmask_b32_e64 v0, v0, v119, s[2:3]
	v_cndmask_b32_e64 v1, v1, v118, s[2:3]
	;; [unrolled: 1-line block ×3, first 2 shown]
	v_cmp_eq_u32_e64 s[2:3], 6, v15
	v_cndmask_b32_e64 v1, v1, v152, s[4:5]
	v_cmp_eq_u32_e64 s[4:5], 7, v15
	v_cndmask_b32_e64 v0, v0, v31, s[2:3]
	v_cndmask_b32_e64 v1, v1, v20, s[2:3]
	v_cndmask_b32_e64 v0, v0, v29, s[4:5]
	v_cndmask_b32_e64 v1, v1, v14, s[4:5]
	v_cmp_eq_u32_e64 s[2:3], 8, v15
	s_nop 1
	v_cndmask_b32_e64 v13, v0, v17, s[2:3]
	v_cndmask_b32_e64 v12, v1, v18, s[2:3]
	v_mov_b64_e32 v[0:1], v[8:9]
	v_cmp_le_f64_e64 s[2:3], 0, v[0:1]
	v_cmp_gt_f64_e64 s[4:5], 0, v[0:1]
	v_cmp_gt_f64_e64 s[6:7], 0, v[12:13]
	v_cmp_le_f64_e64 s[8:9], 0, v[12:13]
	s_and_b64 s[2:3], s[2:3], s[6:7]
	s_and_b64 s[4:5], s[4:5], s[8:9]
	v_cndmask_b32_e64 v6, v6, v15, s[2:3]
	v_cndmask_b32_e64 v11, v11, v15, s[4:5]
	;; [unrolled: 1-line block ×4, first 2 shown]
	s_or_b64 s[12:13], vcc, s[12:13]
	v_mov_b32_e32 v5, v7
	v_mov_b64_e32 v[8:9], v[12:13]
	s_andn2_b64 exec, exec, s[12:13]
	s_cbranch_execnz .LBB4_74
; %bb.75:
	s_or_b64 exec, exec, s[12:13]
.LBB4_76:
	s_or_b64 exec, exec, s[10:11]
	v_cmp_lt_i32_e64 s[2:3], -1, v10
	v_mov_b32_e32 v12, -1
	v_mov_b32_e32 v5, -1
	;; [unrolled: 1-line block ×3, first 2 shown]
	s_and_saveexec_b64 s[52:53], s[2:3]
	s_cbranch_execz .LBB4_78
; %bb.77:
	scratch_load_dwordx4 v[40:43], off, off offset:2656 ; 16-byte Folded Reload
	scratch_load_dwordx4 v[44:47], off, off offset:2672 ; 16-byte Folded Reload
	;; [unrolled: 1-line block ×8, first 2 shown]
	v_cmp_eq_u32_e64 s[4:5], 1, v6
	v_cmp_eq_u32_e64 s[6:7], 2, v6
	;; [unrolled: 1-line block ×3, first 2 shown]
	v_cndmask_b32_e64 v5, v189, v175, s[4:5]
	v_cndmask_b32_e64 v5, v5, v187, s[6:7]
	;; [unrolled: 1-line block ×3, first 2 shown]
	v_cmp_eq_u32_e64 s[10:11], 4, v6
	v_cmp_eq_u32_e64 s[12:13], 5, v6
	;; [unrolled: 1-line block ×3, first 2 shown]
	v_cndmask_b32_e64 v5, v5, v119, s[10:11]
	v_cndmask_b32_e64 v5, v5, v39, s[12:13]
	;; [unrolled: 1-line block ×3, first 2 shown]
	v_cmp_eq_u32_e64 s[16:17], 7, v6
	v_cmp_eq_u32_e64 s[18:19], 8, v6
	v_accvgpr_read_b32 v33, a49
	v_cndmask_b32_e64 v5, v5, v29, s[16:17]
	v_cmp_eq_u32_e64 s[20:21], 1, v10
	v_cndmask_b32_e64 v7, v5, v33, s[18:19]
	v_cmp_eq_u32_e64 s[22:23], 2, v10
	;; [unrolled: 2-line block ×5, first 2 shown]
	v_cndmask_b32_e64 v5, v5, v119, s[26:27]
	v_mov_b32_e32 v75, v39
	v_cndmask_b32_e64 v5, v5, v39, s[28:29]
	v_cndmask_b32_e64 v6, v188, v174, s[4:5]
	;; [unrolled: 1-line block ×10, first 2 shown]
	v_accvgpr_read_b32 v76, a110
	v_cmp_eq_u32_e64 s[30:31], 6, v10
	v_cndmask_b32_e64 v8, v8, v152, s[28:29]
	v_cndmask_b32_e64 v6, v6, v76, s[14:15]
	v_accvgpr_read_b32 v72, a96
	v_cndmask_b32_e64 v5, v5, v31, s[30:31]
	v_cmp_eq_u32_e64 s[36:37], 7, v10
	v_cndmask_b32_e64 v8, v8, v76, s[30:31]
	v_cndmask_b32_e64 v6, v6, v72, s[16:17]
	v_cndmask_b32_e64 v5, v5, v29, s[36:37]
	v_cndmask_b32_e64 v8, v8, v72, s[36:37]
	v_cmp_eq_u32_e64 s[38:39], 8, v10
	v_cndmask_b32_e64 v13, v112, v110, s[20:21]
	v_cndmask_b32_e64 v13, v13, v108, s[22:23]
	;; [unrolled: 1-line block ×5, first 2 shown]
	v_mov_b32_e32 v73, v31
	v_accvgpr_read_b32 v31, a197
	s_waitcnt vmcnt(0)
	v_mov_b32_e32 v71, v29
	v_accvgpr_read_b32 v29, a229
	v_cmp_eq_u32_e64 s[42:43], 7, v37
	v_cmp_eq_u32_e64 s[40:41], 8, v37
	;; [unrolled: 1-line block ×4, first 2 shown]
	v_mov_b32_e32 v32, v56
	scratch_load_dwordx4 v[38:41], off, off offset:224 ; 16-byte Folded Reload
	scratch_load_dwordx4 v[42:45], off, off offset:240 ; 16-byte Folded Reload
	;; [unrolled: 1-line block ×8, first 2 shown]
	v_cndmask_b32_e64 v6, v6, v32, s[18:19]
	v_cndmask_b32_e64 v8, v8, v32, s[38:39]
	v_add_f64 v[16:17], -v[6:7], 0
	v_add_f64 v[18:19], v[8:9], -v[6:7]
	v_div_scale_f64 v[20:21], s[34:35], v[18:19], v[18:19], v[16:17]
	v_rcp_f64_e32 v[22:23], v[20:21]
	v_cmp_eq_u32_e64 s[34:35], 3, v37
	v_fma_f64 v[24:25], -v[20:21], v[22:23], 1.0
	v_fmac_f64_e32 v[22:23], v[22:23], v[24:25]
	v_fma_f64 v[24:25], -v[20:21], v[22:23], 1.0
	v_fmac_f64_e32 v[22:23], v[22:23], v[24:25]
	v_div_scale_f64 v[24:25], vcc, v[16:17], v[18:19], v[16:17]
	v_mul_f64 v[26:27], v[24:25], v[22:23]
	v_fma_f64 v[20:21], -v[20:21], v[26:27], v[24:25]
	s_waitcnt vmcnt(6)
	v_mov_b64_e32 v[24:25], v[44:45]
	scratch_load_dwordx4 v[38:41], off, off offset:96 ; 16-byte Folded Reload
	scratch_load_dwordx4 v[42:45], off, off offset:112 ; 16-byte Folded Reload
	;; [unrolled: 1-line block ×8, first 2 shown]
	v_div_fmas_f64 v[20:21], v[20:21], v[22:23], v[26:27]
	v_div_fixup_f64 v[34:35], v[20:21], v[18:19], v[16:17]
	v_cndmask_b32_e64 v5, v5, v25, s[24:25]
	v_cndmask_b32_e64 v13, v13, v24, s[24:25]
	v_accvgpr_read_b32 v23, a127
	v_cmp_eq_u32_e32 vcc, 4, v37
	s_waitcnt vmcnt(5)
	v_mov_b64_e32 v[26:27], v[46:47]
	scratch_load_dwordx4 v[38:41], off, off offset:2528 ; 16-byte Folded Reload
	scratch_load_dwordx4 v[42:45], off, off offset:2544 ; 16-byte Folded Reload
	;; [unrolled: 1-line block ×8, first 2 shown]
	v_cndmask_b32_e64 v5, v5, v27, s[26:27]
	v_cndmask_b32_e64 v13, v13, v26, s[26:27]
	;; [unrolled: 1-line block ×5, first 2 shown]
	s_waitcnt vmcnt(5)
	v_mov_b32_e32 v28, v48
	scratch_load_dwordx4 v[38:41], off, off offset:2400 ; 16-byte Folded Reload
	scratch_load_dwordx4 v[42:45], off, off offset:2416 ; 16-byte Folded Reload
	scratch_load_dwordx4 v[46:49], off, off offset:2432 ; 16-byte Folded Reload
	scratch_load_dwordx4 v[50:53], off, off offset:2448 ; 16-byte Folded Reload
	scratch_load_dwordx4 v[54:57], off, off offset:2464 ; 16-byte Folded Reload
	scratch_load_dwordx4 v[58:61], off, off offset:2480 ; 16-byte Folded Reload
	scratch_load_dwordx4 v[62:65], off, off offset:2496 ; 16-byte Folded Reload
	scratch_load_dwordx4 v[66:69], off, off offset:2512 ; 16-byte Folded Reload
	v_cndmask_b32_e64 v13, v13, v28, s[28:29]
	s_waitcnt vmcnt(4)
	v_mov_b32_e32 v22, v50
	scratch_load_dwordx4 v[38:41], off, off offset:2272 ; 16-byte Folded Reload
	scratch_load_dwordx4 v[42:45], off, off offset:2288 ; 16-byte Folded Reload
	scratch_load_dwordx4 v[46:49], off, off offset:2304 ; 16-byte Folded Reload
	scratch_load_dwordx4 v[50:53], off, off offset:2320 ; 16-byte Folded Reload
	scratch_load_dwordx4 v[54:57], off, off offset:2336 ; 16-byte Folded Reload
	scratch_load_dwordx4 v[58:61], off, off offset:2352 ; 16-byte Folded Reload
	scratch_load_dwordx4 v[62:65], off, off offset:2368 ; 16-byte Folded Reload
	scratch_load_dwordx4 v[66:69], off, off offset:2384 ; 16-byte Folded Reload
	v_cndmask_b32_e64 v13, v13, v22, s[30:31]
	;; [unrolled: 11-line block ×3, first 2 shown]
	s_waitcnt vmcnt(3)
	v_mov_b32_e32 v21, v55
	scratch_load_dwordx4 v[38:41], off, off offset:2144 ; 16-byte Folded Reload
	scratch_load_dwordx4 v[42:45], off, off offset:2160 ; 16-byte Folded Reload
	;; [unrolled: 1-line block ×16, first 2 shown]
	v_cndmask_b32_e64 v17, v5, v21, s[38:39]
	v_cndmask_b32_e64 v5, v113, v111, s[4:5]
	;; [unrolled: 1-line block ×9, first 2 shown]
	s_waitcnt vmcnt(15)
	v_add_f64 v[38:39], -v[34:35], 1.0
	v_cndmask_b32_e64 v5, v179, v117, s[20:21]
	v_cndmask_b32_e64 v5, v5, v115, s[22:23]
	;; [unrolled: 1-line block ×4, first 2 shown]
	v_mul_f64 v[6:7], v[6:7], v[38:39]
	v_fmac_f64_e32 v[6:7], v[8:9], v[34:35]
	v_mov_b32_e32 v8, 0
	v_cndmask_b32_e32 v99, v119, v7, vcc
	s_waitcnt vmcnt(8)
	v_cndmask_b32_e64 v67, v32, v6, s[40:41]
	v_cndmask_b32_e64 v105, v33, v7, s[40:41]
	;; [unrolled: 1-line block ×4, first 2 shown]
	v_cndmask_b32_e32 v93, v118, v6, vcc
	v_cndmask_b32_e64 v69, v152, v6, s[46:47]
	v_mov_b32_e32 v20, v54
	s_waitcnt vmcnt(5)
	v_accvgpr_read_b32 v55, a11
	scratch_load_dwordx4 a[0:3], off, off offset:1760 ; 16-byte Folded Reload
	scratch_load_dwordx4 a[4:7], off, off offset:1776 ; 16-byte Folded Reload
	;; [unrolled: 1-line block ×8, first 2 shown]
	v_cndmask_b32_e64 v16, v13, v20, s[38:39]
	v_cndmask_b32_e64 v13, v112, v110, s[4:5]
	;; [unrolled: 1-line block ×9, first 2 shown]
	v_mul_f64 v[42:43], v[18:19], v[38:39]
	v_fmac_f64_e32 v[42:43], v[16:17], v[34:35]
	v_cndmask_b32_e64 v16, v14, v42, s[42:43]
	v_cndmask_b32_e64 v15, v20, v42, s[40:41]
	;; [unrolled: 1-line block ×10, first 2 shown]
	v_accvgpr_read_b32 v28, a32
	v_cndmask_b32_e64 v51, v24, v42, s[34:35]
	v_cndmask_b32_e32 v50, v27, v43, vcc
	v_cndmask_b32_e64 v19, v31, v43, s[46:47]
	v_cndmask_b32_e32 v31, v26, v42, vcc
	v_cndmask_b32_e64 v17, v22, v42, s[44:45]
	v_cndmask_b32_e64 v22, v21, v43, s[40:41]
	;; [unrolled: 1-line block ×3, first 2 shown]
	s_waitcnt vmcnt(4)
	v_accvgpr_read_b32 v53, a13
	scratch_load_dwordx4 a[0:3], off, off offset:1632 ; 16-byte Folded Reload
	scratch_load_dwordx4 a[4:7], off, off offset:1648 ; 16-byte Folded Reload
	scratch_load_dwordx4 a[8:11], off, off offset:1664 ; 16-byte Folded Reload
	scratch_load_dwordx4 a[12:15], off, off offset:1680 ; 16-byte Folded Reload
	scratch_load_dwordx4 a[16:19], off, off offset:1696 ; 16-byte Folded Reload
	scratch_load_dwordx4 a[20:23], off, off offset:1712 ; 16-byte Folded Reload
	scratch_load_dwordx4 a[24:27], off, off offset:1728 ; 16-byte Folded Reload
	scratch_load_dwordx4 a[28:31], off, off offset:1744 ; 16-byte Folded Reload
	v_cndmask_b32_e64 v5, v5, v53, s[30:31]
	s_waitcnt vmcnt(4)
	v_accvgpr_read_b32 v47, a15
	scratch_load_dwordx4 a[0:3], off, off offset:1504 ; 16-byte Folded Reload
	scratch_load_dwordx4 a[4:7], off, off offset:1520 ; 16-byte Folded Reload
	scratch_load_dwordx4 a[8:11], off, off offset:1536 ; 16-byte Folded Reload
	scratch_load_dwordx4 a[12:15], off, off offset:1552 ; 16-byte Folded Reload
	scratch_load_dwordx4 a[16:19], off, off offset:1568 ; 16-byte Folded Reload
	scratch_load_dwordx4 a[20:23], off, off offset:1584 ; 16-byte Folded Reload
	scratch_load_dwordx4 a[24:27], off, off offset:1600 ; 16-byte Folded Reload
	scratch_load_dwordx4 a[28:31], off, off offset:1616 ; 16-byte Folded Reload
	v_cndmask_b32_e64 v5, v5, v47, s[36:37]
	s_waitcnt vmcnt(5)
	v_accvgpr_read_b32 v30, a10
	scratch_load_dwordx4 a[0:3], off, off offset:1376 ; 16-byte Folded Reload
	scratch_load_dwordx4 a[4:7], off, off offset:1392 ; 16-byte Folded Reload
	scratch_load_dwordx4 a[8:11], off, off offset:1408 ; 16-byte Folded Reload
	scratch_load_dwordx4 a[12:15], off, off offset:1424 ; 16-byte Folded Reload
	scratch_load_dwordx4 a[16:19], off, off offset:1440 ; 16-byte Folded Reload
	scratch_load_dwordx4 a[20:23], off, off offset:1456 ; 16-byte Folded Reload
	scratch_load_dwordx4 a[24:27], off, off offset:1472 ; 16-byte Folded Reload
	scratch_load_dwordx4 a[28:31], off, off offset:1488 ; 16-byte Folded Reload
	v_cndmask_b32_e64 v13, v13, v30, s[28:29]
	s_waitcnt vmcnt(4)
	v_accvgpr_read_b32 v14, a12
	scratch_load_dwordx4 a[0:3], off, off offset:1248 ; 16-byte Folded Reload
	scratch_load_dwordx4 a[4:7], off, off offset:1264 ; 16-byte Folded Reload
	scratch_load_dwordx4 a[8:11], off, off offset:1280 ; 16-byte Folded Reload
	scratch_load_dwordx4 a[12:15], off, off offset:1296 ; 16-byte Folded Reload
	scratch_load_dwordx4 a[16:19], off, off offset:1312 ; 16-byte Folded Reload
	scratch_load_dwordx4 a[20:23], off, off offset:1328 ; 16-byte Folded Reload
	scratch_load_dwordx4 a[24:27], off, off offset:1344 ; 16-byte Folded Reload
	scratch_load_dwordx4 a[28:31], off, off offset:1360 ; 16-byte Folded Reload
	v_cndmask_b32_e64 v13, v13, v14, s[30:31]
	v_cndmask_b32_e64 v13, v13, v90, s[36:37]
	v_cndmask_b32_e64 v24, v13, v28, s[38:39]
	;; [unrolled: 1-line block ×15, first 2 shown]
	s_waitcnt vmcnt(3)
	v_accvgpr_read_b32 v29, a17
	scratch_load_dwordx4 a[0:3], off, off offset:1120 ; 16-byte Folded Reload
	scratch_load_dwordx4 a[4:7], off, off offset:1136 ; 16-byte Folded Reload
	;; [unrolled: 1-line block ×8, first 2 shown]
	v_cndmask_b32_e64 v25, v5, v29, s[38:39]
	v_cndmask_b32_e64 v5, v179, v117, s[4:5]
	;; [unrolled: 1-line block ×13, first 2 shown]
	v_mul_f64 v[44:45], v[26:27], v[38:39]
	v_fmac_f64_e32 v[44:45], v[24:25], v[34:35]
	v_cndmask_b32_e64 v23, v30, v44, s[46:47]
	v_cndmask_b32_e64 v30, v29, v45, s[40:41]
	;; [unrolled: 1-line block ×3, first 2 shown]
	v_cmp_eq_u32_e64 s[20:21], 1, v37
	v_cmp_eq_u32_e64 s[22:23], 0, v37
	;; [unrolled: 1-line block ×3, first 2 shown]
	v_cndmask_b32_e64 v101, v175, v7, s[20:21]
	v_cndmask_b32_e64 v102, v189, v7, s[22:23]
	;; [unrolled: 1-line block ×15, first 2 shown]
	v_cndmask_b32_e32 v53, v94, v44, vcc
	v_cndmask_b32_e32 v54, v95, v45, vcc
	v_cndmask_b32_e64 v77, v110, v42, s[20:21]
	v_cndmask_b32_e64 v79, v112, v42, s[22:23]
	;; [unrolled: 1-line block ×6, first 2 shown]
	s_waitcnt vmcnt(5)
	v_accvgpr_read_b32 v65, a11
	scratch_load_dwordx4 a[0:3], off, off offset:736 ; 16-byte Folded Reload
	scratch_load_dwordx4 a[4:7], off, off offset:752 ; 16-byte Folded Reload
	scratch_load_dwordx4 a[8:11], off, off offset:768 ; 16-byte Folded Reload
	scratch_load_dwordx4 a[12:15], off, off offset:784 ; 16-byte Folded Reload
	scratch_load_dwordx4 a[16:19], off, off offset:800 ; 16-byte Folded Reload
	scratch_load_dwordx4 a[20:23], off, off offset:816 ; 16-byte Folded Reload
	scratch_load_dwordx4 a[24:27], off, off offset:832 ; 16-byte Folded Reload
	scratch_load_dwordx4 a[28:31], off, off offset:848 ; 16-byte Folded Reload
	v_cndmask_b32_e64 v5, v5, v65, s[28:29]
	s_waitcnt vmcnt(4)
	v_accvgpr_read_b32 v63, a13
	scratch_load_dwordx4 a[0:3], off, off offset:992 ; 16-byte Folded Reload
	scratch_load_dwordx4 a[4:7], off, off offset:1008 ; 16-byte Folded Reload
	scratch_load_dwordx4 a[8:11], off, off offset:1024 ; 16-byte Folded Reload
	scratch_load_dwordx4 a[12:15], off, off offset:1040 ; 16-byte Folded Reload
	scratch_load_dwordx4 a[16:19], off, off offset:1056 ; 16-byte Folded Reload
	scratch_load_dwordx4 a[20:23], off, off offset:1072 ; 16-byte Folded Reload
	scratch_load_dwordx4 a[24:27], off, off offset:1088 ; 16-byte Folded Reload
	scratch_load_dwordx4 a[28:31], off, off offset:1104 ; 16-byte Folded Reload
	v_cndmask_b32_e64 v5, v5, v63, s[30:31]
	;; [unrolled: 11-line block ×4, first 2 shown]
	v_cmp_eq_u32_e64 s[30:31], 2, v11
	s_waitcnt vmcnt(4)
	v_accvgpr_read_b32 v60, a14
	scratch_load_dwordx4 a[0:3], off, off offset:352 ; 16-byte Folded Reload
	scratch_load_dwordx4 a[4:7], off, off offset:368 ; 16-byte Folded Reload
	;; [unrolled: 1-line block ×8, first 2 shown]
	v_cndmask_b32_e64 v13, v13, v60, s[36:37]
	v_cmp_eq_u32_e64 s[36:37], 4, v11
	s_waitcnt vmcnt(3)
	v_accvgpr_read_b32 v59, a17
	scratch_load_dwordx4 a[0:3], off, off offset:480 ; 16-byte Folded Reload
	scratch_load_dwordx4 a[4:7], off, off offset:496 ; 16-byte Folded Reload
	;; [unrolled: 1-line block ×8, first 2 shown]
	v_cndmask_b32_e64 v47, v5, v59, s[38:39]
	v_cndmask_b32_e64 v5, v255, v185, s[4:5]
	;; [unrolled: 1-line block ×9, first 2 shown]
	v_lshlrev_b32_e32 v5, 2, v37
	v_add3_u32 v5, v8, v5, 40
	s_waitcnt vmcnt(3)
	v_accvgpr_read_b32 v58, a16
	v_cndmask_b32_e64 v46, v13, v58, s[38:39]
	v_cndmask_b32_e64 v13, v254, v184, s[4:5]
	;; [unrolled: 1-line block ×9, first 2 shown]
	scratch_load_dword v13, v5, off
	v_mul_f64 v[48:49], v[48:49], v[38:39]
	v_cmp_eq_u32_e64 s[4:5], 2, v37
	v_fmac_f64_e32 v[48:49], v[46:47], v[34:35]
	v_cndmask_b32_e64 v46, v58, v48, s[40:41]
	v_cndmask_b32_e64 v100, v187, v7, s[4:5]
	;; [unrolled: 1-line block ×8, first 2 shown]
	v_cndmask_b32_e32 v63, v84, v48, vcc
	v_cndmask_b32_e64 v65, v196, v48, s[34:35]
	v_cndmask_b32_e64 v66, v197, v49, s[34:35]
	;; [unrolled: 1-line block ×6, first 2 shown]
	v_cmp_eq_u32_e64 s[34:35], 3, v11
	v_cmp_eq_u32_e64 s[38:39], 5, v11
	v_cndmask_b32_e64 v59, v59, v49, s[40:41]
	v_cmp_eq_u32_e64 s[40:41], 6, v11
	v_cmp_eq_u32_e64 s[42:43], 7, v11
	v_cndmask_b32_e64 v76, v108, v42, s[4:5]
	v_cndmask_b32_e64 v80, v109, v43, s[4:5]
	;; [unrolled: 1-line block ×6, first 2 shown]
	v_cmp_eq_u32_e64 s[4:5], 1, v4
	v_cmp_eq_u32_e64 s[44:45], 8, v11
	;; [unrolled: 1-line block ×9, first 2 shown]
	v_cndmask_b32_e64 v4, v98, v97, s[4:5]
	v_cndmask_b32_e64 v4, v4, v96, s[6:7]
	;; [unrolled: 1-line block ×8, first 2 shown]
	v_cndmask_b32_e32 v64, v85, v49, vcc
	v_cndmask_b32_e64 v84, v116, v44, s[20:21]
	v_cndmask_b32_e64 v85, v178, v44, s[22:23]
	v_cndmask_b32_e64 v103, v185, v49, s[20:21]
	v_cndmask_b32_e64 v104, v255, v49, s[22:23]
	s_waitcnt vmcnt(0)
	v_lshlrev_b32_e32 v5, 2, v13
	v_add3_u32 v5, v8, v5, 40
	scratch_load_dword v78, v5, off
	v_cndmask_b32_e64 v8, v102, v101, s[26:27]
	v_cndmask_b32_e64 v8, v8, v100, s[30:31]
	;; [unrolled: 1-line block ×24, first 2 shown]
	v_add_f64 v[6:7], -v[4:5], 0
	v_add_f64 v[34:35], v[8:9], -v[4:5]
	v_div_scale_f64 v[38:39], s[24:25], v[34:35], v[34:35], v[6:7]
	v_rcp_f64_e32 v[40:41], v[38:39]
	v_cmp_eq_u32_e64 s[20:21], 3, v13
	v_cmp_eq_u32_e64 s[22:23], 2, v13
	v_cmp_eq_u32_e64 s[24:25], 1, v13
	v_fma_f64 v[32:33], -v[38:39], v[40:41], 1.0
	v_fmac_f64_e32 v[40:41], v[40:41], v[32:33]
	v_fma_f64 v[32:33], -v[38:39], v[40:41], 1.0
	v_fmac_f64_e32 v[40:41], v[40:41], v[32:33]
	v_div_scale_f64 v[32:33], vcc, v[6:7], v[34:35], v[6:7]
	v_mul_f64 v[42:43], v[32:33], v[40:41]
	v_fma_f64 v[32:33], -v[38:39], v[42:43], v[32:33]
	v_cmp_eq_u32_e64 s[28:29], 0, v13
	s_nop 0
	v_div_fmas_f64 v[32:33], v[32:33], v[40:41], v[42:43]
	v_div_fixup_f64 v[32:33], v[32:33], v[34:35], v[6:7]
	v_cndmask_b32_e64 v6, v82, v81, s[26:27]
	v_cndmask_b32_e64 v6, v6, v80, s[30:31]
	;; [unrolled: 1-line block ×32, first 2 shown]
	v_add_f64 v[38:39], -v[32:33], 1.0
	v_mul_f64 v[6:7], v[6:7], v[38:39]
	v_fmac_f64_e32 v[6:7], v[34:35], v[32:33]
	v_cmp_eq_u32_e32 vcc, 4, v13
	s_waitcnt vmcnt(0)
	scratch_store_dword off, v78, off offset:84
	v_cndmask_b32_e64 v109, v80, v7, s[22:23]
	v_cndmask_b32_e32 v35, v50, v7, vcc
	v_cndmask_b32_e32 v34, v31, v6, vcc
	scratch_store_dwordx4 off, v[26:29], off offset:96 ; 16-byte Folded Spill
	s_nop 0
	scratch_store_dwordx4 off, v[30:33], off offset:112 ; 16-byte Folded Spill
	scratch_store_dwordx4 off, v[34:37], off offset:128 ; 16-byte Folded Spill
	;; [unrolled: 1-line block ×7, first 2 shown]
	v_cndmask_b32_e64 v108, v76, v6, s[22:23]
	v_cndmask_b32_e64 v111, v81, v7, s[24:25]
	v_cndmask_b32_e64 v110, v77, v6, s[24:25]
	v_cndmask_b32_e64 v113, v82, v7, s[28:29]
	v_cndmask_b32_e64 v112, v79, v6, s[28:29]
	v_cndmask_b32_e64 v35, v52, v7, s[20:21]
	v_cndmask_b32_e64 v34, v51, v6, s[20:21]
	scratch_store_dwordx4 off, v[28:31], off offset:224 ; 16-byte Folded Spill
	s_nop 0
	scratch_store_dwordx4 off, v[32:35], off offset:240 ; 16-byte Folded Spill
	scratch_store_dwordx4 off, v[36:39], off offset:256 ; 16-byte Folded Spill
	;; [unrolled: 1-line block ×7, first 2 shown]
	v_cndmask_b32_e64 v31, v88, v87, s[26:27]
	v_cndmask_b32_e64 v31, v31, v86, s[30:31]
	;; [unrolled: 1-line block ×38, first 2 shown]
	v_mul_f64 v[42:43], v[40:41], v[38:39]
	v_cndmask_b32_e64 v31, v31, v60, s[42:43]
	v_fmac_f64_e32 v[42:43], v[34:35], v[32:33]
	v_cndmask_b32_e64 v35, v31, v59, s[44:45]
	v_cndmask_b32_e64 v31, v91, v90, s[26:27]
	;; [unrolled: 1-line block ×25, first 2 shown]
	v_mul_f64 v[44:45], v[40:41], v[38:39]
	v_fmac_f64_e32 v[44:45], v[34:35], v[32:33]
	v_mul_f64 v[34:35], v[4:5], v[38:39]
	v_cmp_eq_u32_e64 s[8:9], 8, v13
	v_fmac_f64_e32 v[34:35], v[8:9], v[32:33]
	v_cndmask_b32_e32 v95, v54, v43, vcc
	v_cndmask_b32_e64 v31, v22, v7, s[8:9]
	v_cndmask_b32_e32 v94, v53, v42, vcc
	v_cndmask_b32_e64 v121, v56, v43, s[20:21]
	v_cndmask_b32_e64 v120, v55, v42, s[20:21]
	;; [unrolled: 1-line block ×8, first 2 shown]
	v_cndmask_b32_e32 v85, v64, v45, vcc
	v_cndmask_b32_e32 v84, v63, v44, vcc
	v_cndmask_b32_e64 v197, v66, v45, s[20:21]
	v_cndmask_b32_e64 v196, v65, v44, s[20:21]
	;; [unrolled: 1-line block ×8, first 2 shown]
	v_cndmask_b32_e32 v119, v99, v35, vcc
	v_cndmask_b32_e32 v118, v93, v34, vcc
	v_cndmask_b32_e64 v229, v75, v35, s[20:21]
	v_cndmask_b32_e64 v228, v48, v34, s[20:21]
	;; [unrolled: 1-line block ×8, first 2 shown]
	v_mov_b32_e32 v5, v37
	scratch_store_dwordx4 off, v[14:17], off offset:2016 ; 16-byte Folded Spill
	s_nop 0
	scratch_store_dwordx4 off, v[18:21], off offset:2032 ; 16-byte Folded Spill
	scratch_store_dwordx4 off, v[22:25], off offset:2048 ; 16-byte Folded Spill
	;; [unrolled: 1-line block ×7, first 2 shown]
	v_cmp_eq_u32_e32 vcc, 7, v13
	v_cmp_eq_u32_e64 s[4:5], 6, v13
	v_cmp_eq_u32_e64 s[6:7], 5, v13
	v_cndmask_b32_e64 v22, v15, v6, s[8:9]
	scratch_store_dwordx4 off, v[6:9], off offset:2144 ; 16-byte Folded Spill
	s_nop 0
	scratch_store_dwordx4 off, v[10:13], off offset:2160 ; 16-byte Folded Spill
	scratch_store_dwordx4 off, v[14:17], off offset:2176 ; 16-byte Folded Spill
	;; [unrolled: 1-line block ×7, first 2 shown]
	v_cndmask_b32_e64 v130, v58, v44, s[6:7]
	v_cndmask_b32_e32 v15, v21, v7, vcc
	v_cndmask_b32_e32 v16, v16, v6, vcc
	v_accvgpr_write_b32 a127, v15
	scratch_store_dwordx4 off, v[2:5], off offset:2272 ; 16-byte Folded Spill
	s_nop 0
	scratch_store_dwordx4 off, v[6:9], off offset:2288 ; 16-byte Folded Spill
	scratch_store_dwordx4 off, v[10:13], off offset:2304 ; 16-byte Folded Spill
	;; [unrolled: 1-line block ×7, first 2 shown]
	v_mov_b32_e32 v16, v74
	v_cndmask_b32_e64 v15, v20, v7, s[4:5]
	v_cndmask_b32_e64 v20, v17, v6, s[4:5]
	v_accvgpr_write_b32 a229, v15
	scratch_store_dwordx4 off, v[8:11], off offset:2400 ; 16-byte Folded Spill
	s_nop 0
	scratch_store_dwordx4 off, v[12:15], off offset:2416 ; 16-byte Folded Spill
	scratch_store_dwordx4 off, v[16:19], off offset:2432 ; 16-byte Folded Spill
	;; [unrolled: 1-line block ×7, first 2 shown]
	v_cndmask_b32_e64 v15, v19, v7, s[6:7]
	v_cndmask_b32_e64 v18, v18, v6, s[6:7]
	v_accvgpr_write_b32 a197, v15
	scratch_store_dwordx4 off, v[8:11], off offset:2528 ; 16-byte Folded Spill
	s_nop 0
	scratch_store_dwordx4 off, v[12:15], off offset:2544 ; 16-byte Folded Spill
	scratch_store_dwordx4 off, v[16:19], off offset:2560 ; 16-byte Folded Spill
	scratch_store_dwordx4 off, v[20:23], off offset:2576 ; 16-byte Folded Spill
	scratch_store_dwordx4 off, v[24:27], off offset:2592 ; 16-byte Folded Spill
	scratch_store_dwordx4 off, v[28:31], off offset:2608 ; 16-byte Folded Spill
	scratch_store_dwordx4 off, v[32:35], off offset:2624 ; 16-byte Folded Spill
	scratch_store_dwordx4 off, v[36:39], off offset:2640 ; 16-byte Folded Spill
	v_cndmask_b32_e64 v17, v30, v43, s[8:9]
	scratch_store_dwordx4 off, v[0:3], off offset:1248 ; 16-byte Folded Spill
	s_nop 0
	scratch_store_dwordx4 off, v[4:7], off offset:1264 ; 16-byte Folded Spill
	scratch_store_dwordx4 off, v[8:11], off offset:1280 ; 16-byte Folded Spill
	scratch_store_dwordx4 off, v[12:15], off offset:1296 ; 16-byte Folded Spill
	scratch_store_dwordx4 off, v[16:19], off offset:1312 ; 16-byte Folded Spill
	scratch_store_dwordx4 off, v[20:23], off offset:1328 ; 16-byte Folded Spill
	scratch_store_dwordx4 off, v[24:27], off offset:1344 ; 16-byte Folded Spill
	scratch_store_dwordx4 off, v[28:31], off offset:1360 ; 16-byte Folded Spill
	v_cndmask_b32_e64 v18, v26, v42, s[8:9]
	v_cndmask_b32_e32 v15, v29, v43, vcc
	v_accvgpr_write_b32 a32, v18
	scratch_store_dwordx4 off, v[0:3], off offset:1632 ; 16-byte Folded Spill
	s_nop 0
	scratch_store_dwordx4 off, v[4:7], off offset:1648 ; 16-byte Folded Spill
	scratch_store_dwordx4 off, v[8:11], off offset:1664 ; 16-byte Folded Spill
	;; [unrolled: 1-line block ×7, first 2 shown]
	v_cndmask_b32_e64 v15, v28, v43, s[4:5]
	v_cndmask_b32_e32 v90, v25, v42, vcc
	scratch_store_dwordx4 off, v[2:5], off offset:1760 ; 16-byte Folded Spill
	s_nop 0
	scratch_store_dwordx4 off, v[6:9], off offset:1776 ; 16-byte Folded Spill
	scratch_store_dwordx4 off, v[10:13], off offset:1792 ; 16-byte Folded Spill
	scratch_store_dwordx4 off, v[14:17], off offset:1808 ; 16-byte Folded Spill
	scratch_store_dwordx4 off, v[18:21], off offset:1824 ; 16-byte Folded Spill
	scratch_store_dwordx4 off, v[22:25], off offset:1840 ; 16-byte Folded Spill
	scratch_store_dwordx4 off, v[26:29], off offset:1856 ; 16-byte Folded Spill
	scratch_store_dwordx4 off, v[30:33], off offset:1872 ; 16-byte Folded Spill
	v_cndmask_b32_e64 v18, v24, v42, s[4:5]
	scratch_store_dwordx4 off, v[6:9], off offset:1376 ; 16-byte Folded Spill
	s_nop 0
	scratch_store_dwordx4 off, v[10:13], off offset:1392 ; 16-byte Folded Spill
	scratch_store_dwordx4 off, v[14:17], off offset:1408 ; 16-byte Folded Spill
	scratch_store_dwordx4 off, v[18:21], off offset:1424 ; 16-byte Folded Spill
	scratch_store_dwordx4 off, v[22:25], off offset:1440 ; 16-byte Folded Spill
	scratch_store_dwordx4 off, v[26:29], off offset:1456 ; 16-byte Folded Spill
	scratch_store_dwordx4 off, v[30:33], off offset:1472 ; 16-byte Folded Spill
	scratch_store_dwordx4 off, v[34:37], off offset:1488 ; 16-byte Folded Spill
	v_cndmask_b32_e64 v15, v27, v43, s[6:7]
	;; [unrolled: 10-line block ×5, first 2 shown]
	scratch_store_dwordx4 off, v[2:5], off offset:480 ; 16-byte Folded Spill
	s_nop 0
	scratch_store_dwordx4 off, v[6:9], off offset:496 ; 16-byte Folded Spill
	scratch_store_dwordx4 off, v[10:13], off offset:512 ; 16-byte Folded Spill
	;; [unrolled: 1-line block ×7, first 2 shown]
	v_cndmask_b32_e32 v15, v60, v45, vcc
	scratch_store_dwordx4 off, v[0:3], off offset:992 ; 16-byte Folded Spill
	s_nop 0
	scratch_store_dwordx4 off, v[4:7], off offset:1008 ; 16-byte Folded Spill
	scratch_store_dwordx4 off, v[8:11], off offset:1024 ; 16-byte Folded Spill
	;; [unrolled: 1-line block ×7, first 2 shown]
	v_cndmask_b32_e32 v18, v47, v44, vcc
	scratch_store_dwordx4 off, v[4:7], off offset:864 ; 16-byte Folded Spill
	s_nop 0
	scratch_store_dwordx4 off, v[8:11], off offset:880 ; 16-byte Folded Spill
	scratch_store_dwordx4 off, v[12:15], off offset:896 ; 16-byte Folded Spill
	scratch_store_dwordx4 off, v[16:19], off offset:912 ; 16-byte Folded Spill
	scratch_store_dwordx4 off, v[20:23], off offset:928 ; 16-byte Folded Spill
	scratch_store_dwordx4 off, v[24:27], off offset:944 ; 16-byte Folded Spill
	scratch_store_dwordx4 off, v[28:31], off offset:960 ; 16-byte Folded Spill
	scratch_store_dwordx4 off, v[32:35], off offset:976 ; 16-byte Folded Spill
	v_cndmask_b32_e64 v15, v61, v45, s[4:5]
	scratch_store_dwordx4 off, v[2:5], off offset:736 ; 16-byte Folded Spill
	s_nop 0
	scratch_store_dwordx4 off, v[6:9], off offset:752 ; 16-byte Folded Spill
	scratch_store_dwordx4 off, v[10:13], off offset:768 ; 16-byte Folded Spill
	scratch_store_dwordx4 off, v[14:17], off offset:784 ; 16-byte Folded Spill
	scratch_store_dwordx4 off, v[18:21], off offset:800 ; 16-byte Folded Spill
	scratch_store_dwordx4 off, v[22:25], off offset:816 ; 16-byte Folded Spill
	scratch_store_dwordx4 off, v[26:29], off offset:832 ; 16-byte Folded Spill
	scratch_store_dwordx4 off, v[30:33], off offset:848 ; 16-byte Folded Spill
	v_cndmask_b32_e64 v18, v57, v44, s[4:5]
	;; [unrolled: 10-line block ×4, first 2 shown]
	v_cndmask_b32_e64 v18, v67, v34, s[8:9]
	v_accvgpr_write_b32 a49, v17
	scratch_store_dwordx4 off, v[2:5], off offset:2656 ; 16-byte Folded Spill
	s_nop 0
	scratch_store_dwordx4 off, v[6:9], off offset:2672 ; 16-byte Folded Spill
	scratch_store_dwordx4 off, v[10:13], off offset:2688 ; 16-byte Folded Spill
	;; [unrolled: 1-line block ×7, first 2 shown]
	v_cndmask_b32_e64 v39, v73, v35, s[6:7]
	v_cndmask_b32_e32 v29, v71, v35, vcc
	v_cndmask_b32_e64 v31, v72, v35, s[4:5]
	v_cndmask_b32_e64 v152, v69, v34, s[6:7]
	v_cndmask_b32_e32 v14, v14, v34, vcc
	v_accvgpr_write_b32 a96, v14
	v_cndmask_b32_e64 v14, v68, v34, s[4:5]
	v_accvgpr_write_b32 a110, v14
.LBB4_78:
	s_or_b64 exec, exec, s[52:53]
	s_mov_b64 s[4:5], 0
	scratch_store_dword off, v12, off offset:80
	s_mov_b64 s[18:19], exec
	scratch_load_dwordx4 v[40:43], off, off offset:2656 ; 16-byte Folded Reload
	scratch_load_dwordx4 v[44:47], off, off offset:2672 ; 16-byte Folded Reload
	;; [unrolled: 1-line block ×8, first 2 shown]
	s_and_b64 s[6:7], s[18:19], s[0:1]
	s_waitcnt vmcnt(3)
	v_mov_b32_e32 v32, v56
	s_mov_b64 exec, s[6:7]
	s_cbranch_execz .LBB4_88
; %bb.79:
	s_mov_b64 s[20:21], 0
	v_cmp_gt_f64_e32 vcc, 0, v[2:3]
	v_mov_b32_e32 v2, v36
	s_branch .LBB4_81
.LBB4_80:                               ;   in Loop: Header=BB4_81 Depth=1
	s_or_b64 exec, exec, s[4:5]
	s_waitcnt vmcnt(0)
	v_cmp_gt_i32_e64 s[4:5], 0, v3
	s_or_b64 s[20:21], s[4:5], s[20:21]
	v_mov_b32_e32 v2, v3
	s_andn2_b64 exec, exec, s[20:21]
	s_cbranch_execz .LBB4_87
.LBB4_81:                               ; =>This Inner Loop Header: Depth=1
	v_cmp_eq_u32_e64 s[4:5], 1, v2
	v_cmp_eq_u32_e64 s[6:7], 2, v2
	;; [unrolled: 1-line block ×3, first 2 shown]
	v_cndmask_b32_e64 v3, v189, v175, s[4:5]
	v_cndmask_b32_e64 v4, v188, v174, s[4:5]
	v_cndmask_b32_e64 v3, v3, v187, s[6:7]
	v_cndmask_b32_e64 v4, v4, v186, s[6:7]
	v_cndmask_b32_e64 v3, v3, v229, s[8:9]
	v_cmp_eq_u32_e64 s[10:11], 4, v2
	v_cndmask_b32_e64 v4, v4, v228, s[8:9]
	v_cmp_eq_u32_e64 s[12:13], 5, v2
	v_cndmask_b32_e64 v3, v3, v119, s[10:11]
	v_cndmask_b32_e64 v4, v4, v118, s[10:11]
	;; [unrolled: 1-line block ×3, first 2 shown]
	v_cmp_eq_u32_e64 s[14:15], 6, v2
	v_cndmask_b32_e64 v4, v4, v152, s[12:13]
	v_accvgpr_read_b32 v12, a110
	v_cndmask_b32_e64 v3, v3, v31, s[14:15]
	v_cmp_eq_u32_e64 s[16:17], 7, v2
	v_cndmask_b32_e64 v4, v4, v12, s[14:15]
	v_accvgpr_read_b32 v14, a96
	v_cndmask_b32_e64 v3, v3, v29, s[16:17]
	v_cndmask_b32_e64 v4, v4, v14, s[16:17]
	v_cmp_eq_u32_e64 s[4:5], 8, v2
	v_accvgpr_read_b32 v17, a49
	s_mov_b64 s[6:7], 0
	v_cndmask_b32_e64 v7, v3, v17, s[4:5]
	v_cndmask_b32_e64 v6, v4, v32, s[4:5]
	v_cmp_ngt_f64_e64 s[4:5], 0, v[6:7]
	v_lshl_add_u32 v6, v2, 2, v16
	scratch_load_dword v3, v6, off
                                        ; implicit-def: $vgpr4
	s_and_saveexec_b64 s[8:9], s[4:5]
	s_xor_b64 s[8:9], exec, s[8:9]
	s_cbranch_execnz .LBB4_84
; %bb.82:                               ;   in Loop: Header=BB4_81 Depth=1
	s_andn2_saveexec_b64 s[4:5], s[8:9]
	s_cbranch_execnz .LBB4_85
.LBB4_83:                               ;   in Loop: Header=BB4_81 Depth=1
	s_or_b64 exec, exec, s[4:5]
	s_and_saveexec_b64 s[4:5], s[6:7]
	s_cbranch_execz .LBB4_80
	s_branch .LBB4_86
.LBB4_84:                               ;   in Loop: Header=BB4_81 Depth=1
	scratch_load_dword v4, off, off offset:80
                                        ; implicit-def: $vgpr6
	s_waitcnt vmcnt(0)
	v_cmp_eq_u32_e64 s[4:5], -1, v4
	v_mov_b32_e32 v4, 0x50
	s_and_b64 s[6:7], s[4:5], exec
	s_andn2_saveexec_b64 s[4:5], s[8:9]
	s_cbranch_execz .LBB4_83
.LBB4_85:                               ;   in Loop: Header=BB4_81 Depth=1
	scratch_load_dword v7, off, off offset:84
	v_mov_b32_e32 v4, 0x54
	s_or_b64 s[6:7], s[6:7], exec
	s_waitcnt vmcnt(0)
	scratch_store_dword v6, v7, off
	s_or_b64 exec, exec, s[4:5]
	s_and_saveexec_b64 s[4:5], s[6:7]
	s_cbranch_execz .LBB4_80
.LBB4_86:                               ;   in Loop: Header=BB4_81 Depth=1
	scratch_store_dword v4, v2, off
	s_branch .LBB4_80
.LBB4_87:
	s_or_b64 exec, exec, s[20:21]
	s_and_b64 s[4:5], vcc, exec
.LBB4_88:
	s_or_b64 exec, exec, s[18:19]
	s_and_saveexec_b64 s[6:7], s[2:3]
	s_cbranch_execz .LBB4_90
; %bb.89:
	v_lshlrev_b32_e32 v2, 2, v10
	v_mov_b32_e32 v3, 0
	v_cmp_gt_f64_e32 vcc, 0, v[0:1]
	v_add3_u32 v2, v3, v2, 40
	v_lshlrev_b32_e32 v4, 2, v5
	s_or_b64 s[2:3], vcc, s[4:5]
	v_lshlrev_b32_e32 v1, 2, v13
	v_add3_u32 v4, v3, v4, 40
	v_cndmask_b32_e64 v0, v11, -1, s[2:3]
	v_add3_u32 v1, v3, v1, 40
	scratch_store_dword v2, v5, off
	scratch_store_dword v4, v13, off
	;; [unrolled: 1-line block ×3, first 2 shown]
.LBB4_90:
	s_or_b64 exec, exec, s[6:7]
	scratch_load_dword v10, off, off offset:80
	v_mov_b64_e32 v[8:9], 0
	v_mov_b64_e32 v[6:7], v[8:9]
	;; [unrolled: 1-line block ×5, first 2 shown]
	s_waitcnt vmcnt(0)
	v_cmp_lt_i32_e32 vcc, -1, v10
	s_and_saveexec_b64 s[16:17], vcc
	s_cbranch_execz .LBB4_96
; %bb.91:
	v_lshlrev_b32_e32 v0, 2, v10
	v_mov_b32_e32 v1, 0
	v_add3_u32 v0, v1, v0, 40
	scratch_load_dword v18, v0, off
	v_mov_b64_e32 v[4:5], 0
	v_mov_b64_e32 v[2:3], v[4:5]
	;; [unrolled: 1-line block ×3, first 2 shown]
	s_waitcnt vmcnt(0)
	v_lshlrev_b32_e32 v0, 2, v18
	v_add3_u32 v0, v1, v0, 40
	scratch_load_dword v15, v0, off
	v_mov_b64_e32 v[0:1], v[4:5]
	s_waitcnt vmcnt(0)
	v_cmp_lt_i32_e32 vcc, -1, v15
	s_and_saveexec_b64 s[18:19], vcc
	s_cbranch_execz .LBB4_95
; %bb.92:
	v_mov_b32_e32 v91, v39
	scratch_load_dwordx4 v[38:41], off, off offset:224 ; 16-byte Folded Reload
	scratch_load_dwordx4 v[42:45], off, off offset:240 ; 16-byte Folded Reload
	;; [unrolled: 1-line block ×24, first 2 shown]
	v_cmp_eq_u32_e32 vcc, 1, v10
	v_cmp_eq_u32_e64 s[2:3], 2, v10
	v_cmp_eq_u32_e64 s[4:5], 3, v10
	v_cndmask_b32_e32 v0, v113, v111, vcc
	v_cndmask_b32_e32 v1, v112, v110, vcc
	v_cndmask_b32_e64 v0, v0, v109, s[2:3]
	v_cndmask_b32_e64 v1, v1, v108, s[2:3]
	v_cmp_eq_u32_e64 s[6:7], 4, v10
	v_cmp_eq_u32_e64 s[8:9], 5, v10
	s_waitcnt vmcnt(9)
	v_accvgpr_read_b32 v79, a197
	v_cmp_eq_u32_e64 s[10:11], 6, v10
	v_accvgpr_read_b32 v75, a229
	v_cmp_eq_u32_e64 s[12:13], 7, v10
	;; [unrolled: 2-line block ×3, first 2 shown]
	v_mov_b64_e32 v[40:41], v[120:121]
	v_mov_b32_e32 v14, v90
	v_accvgpr_read_b32 v68, a32
	v_mov_b32_e32 v56, v16
	v_mov_b64_e32 v[6:7], 0
	v_mov_b32_e32 v89, v31
	v_mov_b32_e32 v87, v29
	s_mov_b64 s[20:21], 0
	v_mov_b64_e32 v[2:3], v[6:7]
	v_mov_b64_e32 v[4:5], v[6:7]
	;; [unrolled: 1-line block ×3, first 2 shown]
	v_cndmask_b32_e64 v0, v0, v33, s[4:5]
	s_waitcnt vmcnt(5)
	v_accvgpr_read_b32 v76, a10
	scratch_load_dwordx4 a[0:3], off, off offset:2400 ; 16-byte Folded Reload
	scratch_load_dwordx4 a[4:7], off, off offset:2416 ; 16-byte Folded Reload
	;; [unrolled: 1-line block ×8, first 2 shown]
	v_cndmask_b32_e64 v1, v1, v32, s[4:5]
	v_cndmask_b32_e64 v0, v0, v61, s[6:7]
	;; [unrolled: 1-line block ×7, first 2 shown]
	s_waitcnt vmcnt(4)
	v_accvgpr_read_b32 v74, a12
	scratch_load_dwordx4 a[0:3], off, off offset:2272 ; 16-byte Folded Reload
	scratch_load_dwordx4 a[4:7], off, off offset:2288 ; 16-byte Folded Reload
	scratch_load_dwordx4 a[8:11], off, off offset:2304 ; 16-byte Folded Reload
	scratch_load_dwordx4 a[12:15], off, off offset:2320 ; 16-byte Folded Reload
	scratch_load_dwordx4 a[16:19], off, off offset:2336 ; 16-byte Folded Reload
	scratch_load_dwordx4 a[20:23], off, off offset:2352 ; 16-byte Folded Reload
	scratch_load_dwordx4 a[24:27], off, off offset:2368 ; 16-byte Folded Reload
	scratch_load_dwordx4 a[28:31], off, off offset:2384 ; 16-byte Folded Reload
	v_cndmask_b32_e64 v1, v1, v74, s[10:11]
	s_waitcnt vmcnt(4)
	v_accvgpr_read_b32 v72, a14
	scratch_load_dwordx4 a[0:3], off, off offset:2016 ; 16-byte Folded Reload
	scratch_load_dwordx4 a[4:7], off, off offset:2032 ; 16-byte Folded Reload
	scratch_load_dwordx4 a[8:11], off, off offset:2048 ; 16-byte Folded Reload
	scratch_load_dwordx4 a[12:15], off, off offset:2064 ; 16-byte Folded Reload
	scratch_load_dwordx4 a[16:19], off, off offset:2080 ; 16-byte Folded Reload
	scratch_load_dwordx4 a[20:23], off, off offset:2096 ; 16-byte Folded Reload
	scratch_load_dwordx4 a[24:27], off, off offset:2112 ; 16-byte Folded Reload
	scratch_load_dwordx4 a[28:31], off, off offset:2128 ; 16-byte Folded Reload
	v_cndmask_b32_e64 v1, v1, v72, s[12:13]
	;; [unrolled: 11-line block ×3, first 2 shown]
	v_cndmask_b32_e32 v0, v179, v117, vcc
	v_cndmask_b32_e64 v0, v0, v115, s[2:3]
	v_cndmask_b32_e64 v0, v0, v41, s[4:5]
	;; [unrolled: 1-line block ×3, first 2 shown]
	s_waitcnt vmcnt(3)
	v_accvgpr_read_b32 v70, a16
	scratch_load_dwordx4 a[0:3], off, off offset:1888 ; 16-byte Folded Reload
	scratch_load_dwordx4 a[4:7], off, off offset:1904 ; 16-byte Folded Reload
	;; [unrolled: 1-line block ×8, first 2 shown]
	v_cndmask_b32_e64 v10, v1, v70, s[14:15]
	v_cndmask_b32_e32 v1, v178, v116, vcc
	v_cndmask_b32_e64 v1, v1, v114, s[2:3]
	v_cndmask_b32_e64 v1, v1, v40, s[4:5]
	;; [unrolled: 1-line block ×3, first 2 shown]
	s_waitcnt vmcnt(5)
	v_accvgpr_read_b32 v77, a11
	scratch_load_dwordx4 a[0:3], off, off offset:1760 ; 16-byte Folded Reload
	scratch_load_dwordx4 a[4:7], off, off offset:1776 ; 16-byte Folded Reload
	scratch_load_dwordx4 a[8:11], off, off offset:1792 ; 16-byte Folded Reload
	scratch_load_dwordx4 a[12:15], off, off offset:1808 ; 16-byte Folded Reload
	scratch_load_dwordx4 a[16:19], off, off offset:1824 ; 16-byte Folded Reload
	scratch_load_dwordx4 a[20:23], off, off offset:1840 ; 16-byte Folded Reload
	scratch_load_dwordx4 a[24:27], off, off offset:1856 ; 16-byte Folded Reload
	scratch_load_dwordx4 a[28:31], off, off offset:1872 ; 16-byte Folded Reload
	v_cndmask_b32_e64 v0, v0, v77, s[8:9]
	s_waitcnt vmcnt(4)
	v_accvgpr_read_b32 v73, a13
	scratch_load_dwordx4 a[0:3], off, off offset:1632 ; 16-byte Folded Reload
	scratch_load_dwordx4 a[4:7], off, off offset:1648 ; 16-byte Folded Reload
	scratch_load_dwordx4 a[8:11], off, off offset:1664 ; 16-byte Folded Reload
	scratch_load_dwordx4 a[12:15], off, off offset:1680 ; 16-byte Folded Reload
	scratch_load_dwordx4 a[16:19], off, off offset:1696 ; 16-byte Folded Reload
	scratch_load_dwordx4 a[20:23], off, off offset:1712 ; 16-byte Folded Reload
	scratch_load_dwordx4 a[24:27], off, off offset:1728 ; 16-byte Folded Reload
	scratch_load_dwordx4 a[28:31], off, off offset:1744 ; 16-byte Folded Reload
	v_cndmask_b32_e64 v0, v0, v73, s[10:11]
	;; [unrolled: 11-line block ×5, first 2 shown]
	v_cndmask_b32_e64 v1, v1, v14, s[12:13]
	v_cndmask_b32_e64 v12, v1, v68, s[14:15]
	v_cndmask_b32_e32 v1, v254, v184, vcc
	v_cndmask_b32_e64 v1, v1, v180, s[2:3]
	v_cndmask_b32_e64 v1, v1, v196, s[4:5]
	;; [unrolled: 1-line block ×4, first 2 shown]
	s_waitcnt vmcnt(3)
	v_accvgpr_read_b32 v69, a17
	scratch_load_dwordx4 a[0:3], off, off offset:1120 ; 16-byte Folded Reload
	scratch_load_dwordx4 a[4:7], off, off offset:1136 ; 16-byte Folded Reload
	;; [unrolled: 1-line block ×8, first 2 shown]
	v_cndmask_b32_e64 v13, v0, v69, s[14:15]
	v_cndmask_b32_e32 v0, v255, v185, vcc
	v_cndmask_b32_e64 v0, v0, v181, s[2:3]
	v_cndmask_b32_e64 v0, v0, v197, s[4:5]
	;; [unrolled: 1-line block ×3, first 2 shown]
	v_cmp_eq_u32_e32 vcc, 1, v18
	v_cmp_eq_u32_e64 s[2:3], 2, v18
	v_cmp_eq_u32_e64 s[4:5], 3, v18
	;; [unrolled: 1-line block ×3, first 2 shown]
	s_waitcnt vmcnt(5)
	v_accvgpr_read_b32 v67, a11
	scratch_load_dwordx4 a[0:3], off, off offset:736 ; 16-byte Folded Reload
	scratch_load_dwordx4 a[4:7], off, off offset:752 ; 16-byte Folded Reload
	;; [unrolled: 1-line block ×8, first 2 shown]
	v_cndmask_b32_e64 v0, v0, v67, s[8:9]
	v_cmp_eq_u32_e64 s[8:9], 5, v18
	s_waitcnt vmcnt(4)
	v_accvgpr_read_b32 v65, a13
	scratch_load_dwordx4 a[0:3], off, off offset:992 ; 16-byte Folded Reload
	scratch_load_dwordx4 a[4:7], off, off offset:1008 ; 16-byte Folded Reload
	scratch_load_dwordx4 a[8:11], off, off offset:1024 ; 16-byte Folded Reload
	scratch_load_dwordx4 a[12:15], off, off offset:1040 ; 16-byte Folded Reload
	scratch_load_dwordx4 a[16:19], off, off offset:1056 ; 16-byte Folded Reload
	scratch_load_dwordx4 a[20:23], off, off offset:1072 ; 16-byte Folded Reload
	scratch_load_dwordx4 a[24:27], off, off offset:1088 ; 16-byte Folded Reload
	scratch_load_dwordx4 a[28:31], off, off offset:1104 ; 16-byte Folded Reload
	v_cndmask_b32_e64 v0, v0, v65, s[10:11]
	s_waitcnt vmcnt(4)
	v_accvgpr_read_b32 v63, a15
	scratch_load_dwordx4 a[0:3], off, off offset:608 ; 16-byte Folded Reload
	scratch_load_dwordx4 a[4:7], off, off offset:624 ; 16-byte Folded Reload
	scratch_load_dwordx4 a[8:11], off, off offset:640 ; 16-byte Folded Reload
	scratch_load_dwordx4 a[12:15], off, off offset:656 ; 16-byte Folded Reload
	scratch_load_dwordx4 a[16:19], off, off offset:672 ; 16-byte Folded Reload
	scratch_load_dwordx4 a[20:23], off, off offset:688 ; 16-byte Folded Reload
	scratch_load_dwordx4 a[24:27], off, off offset:704 ; 16-byte Folded Reload
	scratch_load_dwordx4 a[28:31], off, off offset:720 ; 16-byte Folded Reload
	v_cndmask_b32_e64 v0, v0, v63, s[12:13]
	;; [unrolled: 11-line block ×3, first 2 shown]
	v_cmp_eq_u32_e64 s[10:11], 6, v18
	s_waitcnt vmcnt(4)
	v_accvgpr_read_b32 v64, a14
	scratch_load_dwordx4 a[0:3], off, off offset:352 ; 16-byte Folded Reload
	scratch_load_dwordx4 a[4:7], off, off offset:368 ; 16-byte Folded Reload
	;; [unrolled: 1-line block ×8, first 2 shown]
	v_cndmask_b32_e64 v1, v1, v64, s[12:13]
	v_cmp_eq_u32_e64 s[12:13], 7, v18
	s_waitcnt vmcnt(3)
	v_accvgpr_read_b32 v57, a17
	scratch_load_dwordx4 a[0:3], off, off offset:480 ; 16-byte Folded Reload
	scratch_load_dwordx4 a[4:7], off, off offset:496 ; 16-byte Folded Reload
	;; [unrolled: 1-line block ×8, first 2 shown]
	v_cndmask_b32_e64 v17, v0, v57, s[14:15]
	v_cndmask_b32_e32 v0, v179, v117, vcc
	v_cndmask_b32_e64 v0, v0, v115, s[2:3]
	v_cndmask_b32_e64 v0, v0, v41, s[4:5]
	;; [unrolled: 1-line block ×6, first 2 shown]
	s_waitcnt vmcnt(3)
	v_accvgpr_read_b32 v62, a16
	v_cndmask_b32_e64 v16, v1, v62, s[14:15]
	v_cndmask_b32_e32 v1, v178, v116, vcc
	v_cndmask_b32_e64 v1, v1, v114, s[2:3]
	v_cndmask_b32_e64 v1, v1, v40, s[4:5]
	;; [unrolled: 1-line block ×5, first 2 shown]
	v_cmp_eq_u32_e64 s[14:15], 8, v18
	v_cndmask_b32_e64 v1, v1, v14, s[12:13]
	v_mul_f64 v[20:21], v[16:17], v[10:11]
	v_cndmask_b32_e64 v19, v0, v69, s[14:15]
	v_cndmask_b32_e64 v18, v1, v68, s[14:15]
	v_cndmask_b32_e32 v0, v113, v111, vcc
	v_cndmask_b32_e32 v1, v112, v110, vcc
	v_cndmask_b32_e64 v0, v0, v109, s[2:3]
	v_cndmask_b32_e64 v1, v1, v108, s[2:3]
	;; [unrolled: 1-line block ×14, first 2 shown]
	v_cndmask_b32_e32 v0, v255, v185, vcc
	v_cndmask_b32_e32 v1, v254, v184, vcc
	v_cndmask_b32_e64 v0, v0, v181, s[2:3]
	v_cndmask_b32_e64 v1, v1, v180, s[2:3]
	;; [unrolled: 1-line block ×14, first 2 shown]
	v_add_f64 v[34:35], v[18:19], -v[12:13]
	v_add_f64 v[30:31], v[26:27], -v[10:11]
	v_mul_f64 v[22:23], v[12:13], v[16:17]
	v_mul_f64 v[24:25], v[16:17], v[16:17]
	v_mov_b64_e32 v[0:1], v[6:7]
.LBB4_93:                               ; =>This Inner Loop Header: Depth=1
	v_cmp_eq_u32_e32 vcc, 1, v15
	v_cmp_eq_u32_e64 s[2:3], 2, v15
	v_cmp_eq_u32_e64 s[4:5], 3, v15
	;; [unrolled: 1-line block ×7, first 2 shown]
	v_lshl_add_u32 v15, v15, 2, v56
	scratch_load_dword v15, v15, off
	v_cndmask_b32_e32 v38, v113, v111, vcc
	v_cndmask_b32_e32 v39, v112, v110, vcc
	v_cndmask_b32_e64 v38, v38, v109, s[2:3]
	v_cndmask_b32_e64 v39, v39, v108, s[2:3]
	;; [unrolled: 1-line block ×14, first 2 shown]
	v_cndmask_b32_e32 v42, v179, v117, vcc
	v_cndmask_b32_e32 v43, v178, v116, vcc
	v_cndmask_b32_e64 v42, v42, v115, s[2:3]
	v_cndmask_b32_e64 v43, v43, v114, s[2:3]
	;; [unrolled: 1-line block ×14, first 2 shown]
	v_add_f64 v[44:45], v[38:39], -v[10:11]
	v_mul_f64 v[34:35], v[44:45], v[34:35]
	v_add_f64 v[46:47], v[42:43], -v[12:13]
	v_fma_f64 v[30:31], v[46:47], v[30:31], -v[34:35]
	v_cndmask_b32_e32 v34, v255, v185, vcc
	v_cndmask_b32_e32 v35, v254, v184, vcc
	v_cndmask_b32_e64 v34, v34, v181, s[2:3]
	v_cndmask_b32_e64 v35, v35, v180, s[2:3]
	;; [unrolled: 1-line block ×14, first 2 shown]
	v_fma_f64 v[52:53], v[28:29], v[28:29], v[24:25]
	v_fmac_f64_e32 v[52:53], v[50:51], v[50:51]
	v_fmac_f64_e32 v[52:53], v[16:17], v[28:29]
	;; [unrolled: 1-line block ×3, first 2 shown]
	v_add_f64 v[54:55], v[16:17], v[28:29]
	v_add_f64 v[34:35], v[10:11], v[26:27]
	v_fma_f64 v[26:27], v[26:27], v[28:29], v[20:21]
	v_fmac_f64_e32 v[52:53], v[50:51], v[28:29]
	v_fma_f64 v[28:29], v[18:19], v[28:29], v[22:23]
	v_add_f64 v[18:19], v[12:13], v[18:19]
	v_add_f64 v[54:55], v[50:51], v[54:55]
	;; [unrolled: 1-line block ×4, first 2 shown]
	v_fmac_f64_e32 v[6:7], v[54:55], v[30:31]
	v_mul_f64 v[54:55], v[54:55], v[30:31]
	v_mul_f64 v[34:35], v[34:35], v[54:55]
	;; [unrolled: 1-line block ×3, first 2 shown]
	v_fmac_f64_e32 v[26:27], v[50:51], v[38:39]
	v_fmac_f64_e32 v[28:29], v[42:43], v[50:51]
	;; [unrolled: 1-line block ×5, first 2 shown]
	v_add_f64 v[0:1], v[0:1], v[34:35]
	v_add_f64 v[2:3], v[2:3], v[18:19]
	v_mov_b64_e32 v[26:27], v[38:39]
	v_mov_b64_e32 v[18:19], v[42:43]
	;; [unrolled: 1-line block ×3, first 2 shown]
	s_waitcnt vmcnt(0)
	v_cmp_gt_i32_e32 vcc, 0, v15
	v_mov_b64_e32 v[30:31], v[44:45]
	s_or_b64 s[20:21], vcc, s[20:21]
	v_mov_b64_e32 v[28:29], v[50:51]
	s_andn2_b64 exec, exec, s[20:21]
	s_cbranch_execnz .LBB4_93
; %bb.94:
	s_or_b64 exec, exec, s[20:21]
	scratch_load_dwordx4 v[40:43], off, off offset:2656 ; 16-byte Folded Reload
	scratch_load_dwordx4 v[44:47], off, off offset:2672 ; 16-byte Folded Reload
	;; [unrolled: 1-line block ×8, first 2 shown]
	v_mov_b32_e32 v29, v87
	v_mov_b32_e32 v31, v89
	;; [unrolled: 1-line block ×3, first 2 shown]
	s_waitcnt vmcnt(3)
	v_mov_b32_e32 v32, v56
.LBB4_95:
	s_or_b64 exec, exec, s[18:19]
.LBB4_96:
	s_or_b64 exec, exec, s[16:17]
	s_and_saveexec_b64 s[18:19], s[0:1]
	s_cbranch_execz .LBB4_100
; %bb.97:
	s_mov_b32 s22, 0x4ad4b81f
	s_mov_b64 s[20:21], 0
	s_mov_b32 s23, 0xb58dee7a
	v_mov_b32_e32 v8, 0
	v_mov_b32_e32 v9, v36
	v_accvgpr_read_b32 v17, a49
	v_accvgpr_read_b32 v14, a96
	;; [unrolled: 1-line block ×3, first 2 shown]
.LBB4_98:                               ; =>This Inner Loop Header: Depth=1
	v_cmp_eq_u32_e32 vcc, 1, v9
	v_cmp_eq_u32_e64 s[2:3], 2, v9
	v_cmp_eq_u32_e64 s[4:5], 3, v9
	;; [unrolled: 1-line block ×8, first 2 shown]
	v_lshl_add_u32 v9, v9, 2, v8
	scratch_load_dword v9, v9, off
	v_cndmask_b32_e32 v10, v189, v175, vcc
	v_cndmask_b32_e32 v11, v188, v174, vcc
	v_cndmask_b32_e64 v10, v10, v187, s[2:3]
	v_cndmask_b32_e64 v11, v11, v186, s[2:3]
	v_cndmask_b32_e64 v10, v10, v229, s[4:5]
	v_cndmask_b32_e64 v11, v11, v228, s[4:5]
	v_cndmask_b32_e64 v10, v10, v119, s[6:7]
	v_cndmask_b32_e64 v11, v11, v118, s[6:7]
	v_cndmask_b32_e64 v10, v10, v39, s[8:9]
	v_cndmask_b32_e64 v11, v11, v152, s[8:9]
	v_cndmask_b32_e64 v10, v10, v31, s[10:11]
	v_cndmask_b32_e64 v11, v11, v16, s[10:11]
	v_cndmask_b32_e64 v10, v10, v29, s[12:13]
	v_cndmask_b32_e64 v12, v11, v14, s[12:13]
	v_cndmask_b32_e64 v11, v10, v17, s[14:15]
	v_cndmask_b32_e64 v10, v12, v32, s[14:15]
	v_add_f64 v[10:11], -v[10:11], s[22:23]
	v_cndmask_b32_e32 v175, v175, v11, vcc
	v_cndmask_b32_e32 v174, v174, v10, vcc
	v_cndmask_b32_e64 v17, v17, v11, s[14:15]
	v_cndmask_b32_e64 v32, v32, v10, s[14:15]
	v_cndmask_b32_e64 v29, v29, v11, s[12:13]
	v_cndmask_b32_e64 v14, v14, v10, s[12:13]
	v_cndmask_b32_e64 v31, v31, v11, s[10:11]
	v_cndmask_b32_e64 v16, v16, v10, s[10:11]
	v_cndmask_b32_e64 v39, v39, v11, s[8:9]
	v_cndmask_b32_e64 v152, v152, v10, s[8:9]
	v_cndmask_b32_e64 v119, v119, v11, s[6:7]
	v_cndmask_b32_e64 v118, v118, v10, s[6:7]
	v_cndmask_b32_e64 v229, v229, v11, s[4:5]
	v_cndmask_b32_e64 v228, v228, v10, s[4:5]
	v_cndmask_b32_e64 v187, v187, v11, s[2:3]
	v_cndmask_b32_e64 v186, v186, v10, s[2:3]
	v_cndmask_b32_e64 v189, v189, v11, s[16:17]
	v_cndmask_b32_e64 v188, v188, v10, s[16:17]
	s_waitcnt vmcnt(0)
	v_cmp_gt_i32_e32 vcc, 0, v9
	s_or_b64 s[20:21], vcc, s[20:21]
	s_andn2_b64 exec, exec, s[20:21]
	s_cbranch_execnz .LBB4_98
; %bb.99:
	s_or_b64 exec, exec, s[20:21]
	v_cmp_eq_u32_e32 vcc, 1, v36
	v_cmp_eq_u32_e64 s[2:3], 2, v36
	v_cmp_eq_u32_e64 s[4:5], 3, v36
	v_cndmask_b32_e32 v8, v189, v175, vcc
	v_cndmask_b32_e32 v9, v188, v174, vcc
	v_cndmask_b32_e64 v8, v8, v187, s[2:3]
	v_cndmask_b32_e64 v9, v9, v186, s[2:3]
	v_cndmask_b32_e64 v8, v8, v229, s[4:5]
	v_cmp_eq_u32_e64 s[6:7], 4, v36
	v_cndmask_b32_e64 v9, v9, v228, s[4:5]
	v_cmp_eq_u32_e64 s[8:9], 5, v36
	v_cndmask_b32_e64 v8, v8, v119, s[6:7]
	v_cndmask_b32_e64 v9, v9, v118, s[6:7]
	v_cndmask_b32_e64 v8, v8, v39, s[8:9]
	v_cmp_eq_u32_e64 s[10:11], 6, v36
	v_cndmask_b32_e64 v9, v9, v152, s[8:9]
	v_cmp_eq_u32_e64 s[12:13], 7, v36
	v_cndmask_b32_e64 v8, v8, v31, s[10:11]
	v_cndmask_b32_e64 v9, v9, v16, s[10:11]
	;; [unrolled: 1-line block ×4, first 2 shown]
	v_cmp_eq_u32_e32 vcc, 8, v36
	v_accvgpr_write_b32 a110, v16
	v_accvgpr_write_b32 a96, v14
	;; [unrolled: 1-line block ×3, first 2 shown]
	v_cndmask_b32_e32 v9, v8, v17, vcc
	v_cndmask_b32_e32 v8, v10, v32, vcc
.LBB4_100:
	s_or_b64 exec, exec, s[18:19]
	v_mov_b64_e32 v[12:13], -1
	v_mov_b32_e32 v20, -1
	v_mov_b64_e32 v[16:17], v[12:13]
	v_mov_b64_e32 v[10:11], v[8:9]
	v_mov_b32_e32 v21, -1
	s_and_saveexec_b64 s[10:11], s[0:1]
	s_cbranch_execz .LBB4_104
; %bb.101:
	s_mov_b64 s[12:13], 0
	v_mov_b32_e32 v20, -1
	v_mov_b32_e32 v13, 0
	v_mov_b32_e32 v15, v36
	v_mov_b32_e32 v12, -1
	v_mov_b32_e32 v16, -1
	;; [unrolled: 1-line block ×3, first 2 shown]
	v_mov_b64_e32 v[18:19], v[8:9]
	v_accvgpr_read_b32 v25, a49
	v_accvgpr_read_b32 v14, a96
	;; [unrolled: 1-line block ×3, first 2 shown]
.LBB4_102:                              ; =>This Inner Loop Header: Depth=1
	v_lshl_add_u32 v10, v15, 2, v13
	scratch_load_dword v17, v10, off
	s_waitcnt vmcnt(0)
	v_cmp_gt_i32_e32 vcc, 0, v17
	s_nop 1
	v_cndmask_b32_e32 v24, v17, v36, vcc
	v_cmp_eq_u32_e64 s[2:3], 1, v24
	v_cmp_eq_u32_e64 s[4:5], 2, v24
	;; [unrolled: 1-line block ×3, first 2 shown]
	v_cndmask_b32_e64 v10, v189, v175, s[2:3]
	v_cndmask_b32_e64 v11, v188, v174, s[2:3]
	v_cndmask_b32_e64 v10, v10, v187, s[4:5]
	v_cndmask_b32_e64 v11, v11, v186, s[4:5]
	v_cndmask_b32_e64 v10, v10, v229, s[6:7]
	v_cmp_eq_u32_e64 s[2:3], 4, v24
	v_cndmask_b32_e64 v11, v11, v228, s[6:7]
	v_cmp_eq_u32_e64 s[4:5], 5, v24
	v_cndmask_b32_e64 v10, v10, v119, s[2:3]
	v_cndmask_b32_e64 v11, v11, v118, s[2:3]
	;; [unrolled: 1-line block ×3, first 2 shown]
	v_cmp_eq_u32_e64 s[2:3], 6, v24
	v_cndmask_b32_e64 v11, v11, v152, s[4:5]
	v_cmp_eq_u32_e64 s[4:5], 7, v24
	v_cndmask_b32_e64 v10, v10, v31, s[2:3]
	v_cndmask_b32_e64 v11, v11, v26, s[2:3]
	;; [unrolled: 1-line block ×4, first 2 shown]
	v_cmp_eq_u32_e64 s[2:3], 8, v24
	s_nop 1
	v_cndmask_b32_e64 v23, v10, v25, s[2:3]
	v_cndmask_b32_e64 v22, v11, v32, s[2:3]
	v_mov_b64_e32 v[10:11], v[18:19]
	v_cmp_le_f64_e64 s[2:3], 0, v[10:11]
	v_cmp_gt_f64_e64 s[4:5], 0, v[10:11]
	v_cmp_gt_f64_e64 s[6:7], 0, v[22:23]
	v_cmp_le_f64_e64 s[8:9], 0, v[22:23]
	s_and_b64 s[2:3], s[2:3], s[6:7]
	s_and_b64 s[4:5], s[4:5], s[8:9]
	v_cndmask_b32_e64 v16, v16, v24, s[2:3]
	v_cndmask_b32_e64 v21, v21, v24, s[4:5]
	;; [unrolled: 1-line block ×4, first 2 shown]
	s_or_b64 s[12:13], vcc, s[12:13]
	v_mov_b32_e32 v15, v17
	v_mov_b64_e32 v[18:19], v[22:23]
	s_andn2_b64 exec, exec, s[12:13]
	s_cbranch_execnz .LBB4_102
; %bb.103:
	s_or_b64 exec, exec, s[12:13]
.LBB4_104:
	s_or_b64 exec, exec, s[10:11]
	v_cmp_lt_i32_e64 s[2:3], -1, v20
	v_mov_b32_e32 v18, -1
	v_mov_b32_e32 v13, -1
	;; [unrolled: 1-line block ×3, first 2 shown]
	s_and_saveexec_b64 s[52:53], s[2:3]
	s_cbranch_execz .LBB4_106
; %bb.105:
	scratch_load_dwordx4 v[48:51], off, off offset:224 ; 16-byte Folded Reload
	scratch_load_dwordx4 v[52:55], off, off offset:240 ; 16-byte Folded Reload
	;; [unrolled: 1-line block ×8, first 2 shown]
	v_cmp_eq_u32_e64 s[4:5], 1, v16
	v_cmp_eq_u32_e64 s[6:7], 2, v16
	;; [unrolled: 1-line block ×3, first 2 shown]
	v_cndmask_b32_e64 v13, v189, v175, s[4:5]
	v_cndmask_b32_e64 v15, v188, v174, s[4:5]
	;; [unrolled: 1-line block ×5, first 2 shown]
	v_cmp_eq_u32_e64 s[10:11], 4, v16
	v_cndmask_b32_e64 v15, v15, v228, s[8:9]
	v_cmp_eq_u32_e64 s[12:13], 5, v16
	v_cndmask_b32_e64 v13, v13, v119, s[10:11]
	v_cndmask_b32_e64 v15, v15, v118, s[10:11]
	;; [unrolled: 1-line block ×3, first 2 shown]
	v_cmp_eq_u32_e64 s[14:15], 6, v16
	v_cndmask_b32_e64 v15, v15, v152, s[12:13]
	v_accvgpr_read_b32 v86, a110
	v_cndmask_b32_e64 v13, v13, v31, s[14:15]
	v_cmp_eq_u32_e64 s[16:17], 7, v16
	v_cndmask_b32_e64 v15, v15, v86, s[14:15]
	v_accvgpr_read_b32 v82, a96
	v_cndmask_b32_e64 v13, v13, v29, s[16:17]
	v_cmp_eq_u32_e64 s[18:19], 8, v16
	v_cndmask_b32_e64 v15, v15, v82, s[16:17]
	v_accvgpr_read_b32 v33, a49
	v_cmp_eq_u32_e64 s[20:21], 1, v20
	v_cndmask_b32_e64 v17, v13, v33, s[18:19]
	v_cndmask_b32_e64 v16, v15, v32, s[18:19]
	v_cndmask_b32_e64 v13, v189, v175, s[20:21]
	v_cmp_eq_u32_e64 s[22:23], 2, v20
	v_cndmask_b32_e64 v15, v188, v174, s[20:21]
	v_cmp_eq_u32_e64 s[24:25], 3, v20
	v_cndmask_b32_e64 v13, v13, v187, s[22:23]
	v_cndmask_b32_e64 v15, v15, v186, s[22:23]
	v_cndmask_b32_e64 v13, v13, v229, s[24:25]
	v_cmp_eq_u32_e64 s[26:27], 4, v20
	v_cndmask_b32_e64 v15, v15, v228, s[24:25]
	;; [unrolled: 6-line block ×3, first 2 shown]
	v_cmp_eq_u32_e64 s[34:35], 7, v20
	v_cndmask_b32_e64 v13, v13, v31, s[30:31]
	v_cndmask_b32_e64 v15, v15, v86, s[30:31]
	v_cndmask_b32_e64 v13, v13, v29, s[34:35]
	v_cndmask_b32_e64 v15, v15, v82, s[34:35]
	v_cmp_eq_u32_e64 s[38:39], 8, v20
	v_add_f64 v[22:23], -v[16:17], 0
	v_mov_b32_e32 v41, v29
	v_cndmask_b32_e64 v45, v13, v33, s[38:39]
	v_cndmask_b32_e64 v44, v15, v32, s[38:39]
	v_add_f64 v[24:25], v[44:45], -v[16:17]
	v_div_scale_f64 v[26:27], s[36:37], v[24:25], v[24:25], v[22:23]
	v_rcp_f64_e32 v[28:29], v[26:27]
	v_mov_b32_e32 v89, v31
	v_mov_b32_e32 v40, v32
	v_cndmask_b32_e64 v13, v113, v111, s[20:21]
	v_fma_f64 v[30:31], -v[26:27], v[28:29], 1.0
	v_fmac_f64_e32 v[28:29], v[28:29], v[30:31]
	v_fma_f64 v[30:31], -v[26:27], v[28:29], 1.0
	v_fmac_f64_e32 v[28:29], v[28:29], v[30:31]
	v_div_scale_f64 v[30:31], vcc, v[22:23], v[24:25], v[22:23]
	v_mul_f64 v[34:35], v[30:31], v[28:29]
	v_fma_f64 v[26:27], -v[26:27], v[34:35], v[30:31]
	v_cndmask_b32_e64 v15, v112, v110, s[20:21]
	s_nop 0
	v_div_fmas_f64 v[26:27], v[26:27], v[28:29], v[34:35]
	v_cndmask_b32_e64 v13, v13, v109, s[22:23]
	v_cndmask_b32_e64 v15, v15, v108, s[22:23]
	v_accvgpr_read_b32 v43, a197
	v_mov_b32_e32 v91, v39
	v_accvgpr_read_b32 v39, a229
	v_div_fixup_f64 v[46:47], v[26:27], v[24:25], v[22:23]
	v_accvgpr_read_b32 v27, a127
	v_cmp_eq_u32_e64 s[42:43], 7, v37
	v_cmp_eq_u32_e64 s[44:45], 6, v37
	s_waitcnt vmcnt(6)
	v_mov_b64_e32 v[30:31], v[54:55]
	scratch_load_dwordx4 v[48:51], off, off offset:96 ; 16-byte Folded Reload
	scratch_load_dwordx4 v[52:55], off, off offset:112 ; 16-byte Folded Reload
	scratch_load_dwordx4 v[56:59], off, off offset:128 ; 16-byte Folded Reload
	scratch_load_dwordx4 v[60:63], off, off offset:144 ; 16-byte Folded Reload
	scratch_load_dwordx4 v[64:67], off, off offset:160 ; 16-byte Folded Reload
	scratch_load_dwordx4 v[68:71], off, off offset:176 ; 16-byte Folded Reload
	scratch_load_dwordx4 v[72:75], off, off offset:192 ; 16-byte Folded Reload
	scratch_load_dwordx4 v[76:79], off, off offset:208 ; 16-byte Folded Reload
	v_cndmask_b32_e64 v13, v13, v31, s[24:25]
	v_cndmask_b32_e64 v15, v15, v30, s[24:25]
	v_cmp_eq_u32_e64 s[46:47], 5, v37
	v_cmp_eq_u32_e64 s[40:41], 8, v37
	;; [unrolled: 1-line block ×3, first 2 shown]
	v_accvgpr_read_b32 v38, a32
	v_cmp_eq_u32_e32 vcc, 4, v37
	s_waitcnt vmcnt(5)
	v_mov_b64_e32 v[34:35], v[56:57]
	scratch_load_dwordx4 v[48:51], off, off offset:2528 ; 16-byte Folded Reload
	scratch_load_dwordx4 v[52:55], off, off offset:2544 ; 16-byte Folded Reload
	scratch_load_dwordx4 v[56:59], off, off offset:2560 ; 16-byte Folded Reload
	scratch_load_dwordx4 v[60:63], off, off offset:2576 ; 16-byte Folded Reload
	scratch_load_dwordx4 v[64:67], off, off offset:2592 ; 16-byte Folded Reload
	scratch_load_dwordx4 v[68:71], off, off offset:2608 ; 16-byte Folded Reload
	scratch_load_dwordx4 v[72:75], off, off offset:2624 ; 16-byte Folded Reload
	scratch_load_dwordx4 v[76:79], off, off offset:2640 ; 16-byte Folded Reload
	v_cndmask_b32_e64 v13, v13, v35, s[26:27]
	v_cndmask_b32_e64 v15, v15, v34, s[26:27]
	;; [unrolled: 1-line block ×5, first 2 shown]
	s_waitcnt vmcnt(5)
	v_mov_b32_e32 v32, v58
	scratch_load_dwordx4 v[48:51], off, off offset:2400 ; 16-byte Folded Reload
	scratch_load_dwordx4 v[52:55], off, off offset:2416 ; 16-byte Folded Reload
	scratch_load_dwordx4 v[56:59], off, off offset:2432 ; 16-byte Folded Reload
	scratch_load_dwordx4 v[60:63], off, off offset:2448 ; 16-byte Folded Reload
	scratch_load_dwordx4 v[64:67], off, off offset:2464 ; 16-byte Folded Reload
	scratch_load_dwordx4 v[68:71], off, off offset:2480 ; 16-byte Folded Reload
	scratch_load_dwordx4 v[72:75], off, off offset:2496 ; 16-byte Folded Reload
	scratch_load_dwordx4 v[76:79], off, off offset:2512 ; 16-byte Folded Reload
	v_cndmask_b32_e64 v15, v15, v32, s[28:29]
	s_waitcnt vmcnt(4)
	v_mov_b32_e32 v28, v60
	scratch_load_dwordx4 v[48:51], off, off offset:2272 ; 16-byte Folded Reload
	scratch_load_dwordx4 v[52:55], off, off offset:2288 ; 16-byte Folded Reload
	scratch_load_dwordx4 v[56:59], off, off offset:2304 ; 16-byte Folded Reload
	scratch_load_dwordx4 v[60:63], off, off offset:2320 ; 16-byte Folded Reload
	scratch_load_dwordx4 v[64:67], off, off offset:2336 ; 16-byte Folded Reload
	scratch_load_dwordx4 v[68:71], off, off offset:2352 ; 16-byte Folded Reload
	scratch_load_dwordx4 v[72:75], off, off offset:2368 ; 16-byte Folded Reload
	scratch_load_dwordx4 v[76:79], off, off offset:2384 ; 16-byte Folded Reload
	v_cndmask_b32_e64 v15, v15, v28, s[30:31]
	;; [unrolled: 11-line block ×3, first 2 shown]
	s_waitcnt vmcnt(3)
	v_mov_b32_e32 v19, v65
	scratch_load_dwordx4 v[48:51], off, off offset:2144 ; 16-byte Folded Reload
	scratch_load_dwordx4 v[52:55], off, off offset:2160 ; 16-byte Folded Reload
	;; [unrolled: 1-line block ×16, first 2 shown]
	v_cndmask_b32_e64 v23, v13, v19, s[38:39]
	v_cndmask_b32_e64 v13, v113, v111, s[4:5]
	;; [unrolled: 1-line block ×9, first 2 shown]
	s_waitcnt vmcnt(15)
	v_add_f64 v[50:51], -v[46:47], 1.0
	v_cndmask_b32_e64 v13, v179, v117, s[20:21]
	v_cndmask_b32_e64 v13, v13, v115, s[22:23]
	;; [unrolled: 1-line block ×4, first 2 shown]
	v_mul_f64 v[16:17], v[16:17], v[50:51]
	v_fmac_f64_e32 v[16:17], v[44:45], v[46:47]
	v_cndmask_b32_e64 v80, v40, v16, s[40:41]
	v_cndmask_b32_e64 v81, v82, v16, s[42:43]
	;; [unrolled: 1-line block ×4, first 2 shown]
	v_cndmask_b32_e32 v99, v118, v16, vcc
	s_waitcnt vmcnt(9)
	v_cndmask_b32_e64 v74, v228, v16, s[36:37]
	v_cndmask_b32_e64 v75, v229, v17, s[36:37]
	v_cndmask_b32_e32 v103, v119, v17, vcc
	v_cndmask_b32_e64 v88, v89, v17, s[44:45]
	v_cndmask_b32_e64 v89, v91, v17, s[46:47]
	;; [unrolled: 1-line block ×4, first 2 shown]
	v_mov_b32_e32 v26, v64
	s_waitcnt vmcnt(5)
	v_accvgpr_read_b32 v63, a11
	scratch_load_dwordx4 a[0:3], off, off offset:1760 ; 16-byte Folded Reload
	scratch_load_dwordx4 a[4:7], off, off offset:1776 ; 16-byte Folded Reload
	;; [unrolled: 1-line block ×8, first 2 shown]
	v_cndmask_b32_e64 v22, v15, v26, s[38:39]
	v_cndmask_b32_e64 v15, v112, v110, s[4:5]
	;; [unrolled: 1-line block ×9, first 2 shown]
	v_mul_f64 v[52:53], v[24:25], v[50:51]
	v_fmac_f64_e32 v[52:53], v[22:23], v[46:47]
	v_cndmask_b32_e64 v24, v28, v52, s[44:45]
	v_cndmask_b32_e64 v28, v27, v53, s[42:43]
	;; [unrolled: 1-line block ×13, first 2 shown]
	v_cndmask_b32_e32 v58, v34, v52, vcc
	v_cndmask_b32_e32 v59, v35, v53, vcc
	v_cndmask_b32_e64 v22, v26, v52, s[40:41]
	v_cndmask_b32_e64 v26, v43, v53, s[46:47]
	s_waitcnt vmcnt(4)
	v_accvgpr_read_b32 v57, a13
	scratch_load_dwordx4 a[0:3], off, off offset:1632 ; 16-byte Folded Reload
	scratch_load_dwordx4 a[4:7], off, off offset:1648 ; 16-byte Folded Reload
	scratch_load_dwordx4 a[8:11], off, off offset:1664 ; 16-byte Folded Reload
	scratch_load_dwordx4 a[12:15], off, off offset:1680 ; 16-byte Folded Reload
	scratch_load_dwordx4 a[16:19], off, off offset:1696 ; 16-byte Folded Reload
	scratch_load_dwordx4 a[20:23], off, off offset:1712 ; 16-byte Folded Reload
	scratch_load_dwordx4 a[24:27], off, off offset:1728 ; 16-byte Folded Reload
	scratch_load_dwordx4 a[28:31], off, off offset:1744 ; 16-byte Folded Reload
	v_cndmask_b32_e64 v13, v13, v57, s[30:31]
	s_waitcnt vmcnt(4)
	v_accvgpr_read_b32 v39, a15
	scratch_load_dwordx4 a[0:3], off, off offset:1504 ; 16-byte Folded Reload
	scratch_load_dwordx4 a[4:7], off, off offset:1520 ; 16-byte Folded Reload
	scratch_load_dwordx4 a[8:11], off, off offset:1536 ; 16-byte Folded Reload
	scratch_load_dwordx4 a[12:15], off, off offset:1552 ; 16-byte Folded Reload
	scratch_load_dwordx4 a[16:19], off, off offset:1568 ; 16-byte Folded Reload
	scratch_load_dwordx4 a[20:23], off, off offset:1584 ; 16-byte Folded Reload
	scratch_load_dwordx4 a[24:27], off, off offset:1600 ; 16-byte Folded Reload
	scratch_load_dwordx4 a[28:31], off, off offset:1616 ; 16-byte Folded Reload
	;; [unrolled: 11-line block ×4, first 2 shown]
	v_cndmask_b32_e64 v15, v15, v14, s[30:31]
	v_cndmask_b32_e64 v15, v15, v90, s[34:35]
	;; [unrolled: 1-line block ×16, first 2 shown]
	s_waitcnt vmcnt(3)
	v_accvgpr_read_b32 v19, a17
	scratch_load_dwordx4 a[0:3], off, off offset:1120 ; 16-byte Folded Reload
	scratch_load_dwordx4 a[4:7], off, off offset:1136 ; 16-byte Folded Reload
	;; [unrolled: 1-line block ×8, first 2 shown]
	v_cndmask_b32_e64 v31, v13, v19, s[38:39]
	v_cndmask_b32_e64 v13, v179, v117, s[4:5]
	;; [unrolled: 1-line block ×9, first 2 shown]
	v_mul_f64 v[54:55], v[34:35], v[50:51]
	v_fmac_f64_e32 v[54:55], v[30:31], v[46:47]
	v_cndmask_b32_e64 v43, v19, v55, s[40:41]
	v_cndmask_b32_e64 v13, v255, v185, s[20:21]
	;; [unrolled: 1-line block ×8, first 2 shown]
	v_cmp_eq_u32_e64 s[20:21], 1, v37
	v_cmp_eq_u32_e64 s[22:23], 0, v37
	;; [unrolled: 1-line block ×3, first 2 shown]
	v_cndmask_b32_e64 v105, v175, v17, s[20:21]
	v_cndmask_b32_e64 v106, v189, v17, s[22:23]
	;; [unrolled: 1-line block ×10, first 2 shown]
	v_cndmask_b32_e32 v62, v94, v54, vcc
	v_cndmask_b32_e32 v63, v95, v55, vcc
	v_cndmask_b32_e64 v91, v116, v54, s[20:21]
	v_cndmask_b32_e64 v93, v117, v55, s[20:21]
	s_waitcnt vmcnt(5)
	v_accvgpr_read_b32 v77, a11
	scratch_load_dwordx4 a[0:3], off, off offset:736 ; 16-byte Folded Reload
	scratch_load_dwordx4 a[4:7], off, off offset:752 ; 16-byte Folded Reload
	scratch_load_dwordx4 a[8:11], off, off offset:768 ; 16-byte Folded Reload
	scratch_load_dwordx4 a[12:15], off, off offset:784 ; 16-byte Folded Reload
	scratch_load_dwordx4 a[16:19], off, off offset:800 ; 16-byte Folded Reload
	scratch_load_dwordx4 a[20:23], off, off offset:816 ; 16-byte Folded Reload
	scratch_load_dwordx4 a[24:27], off, off offset:832 ; 16-byte Folded Reload
	scratch_load_dwordx4 a[28:31], off, off offset:848 ; 16-byte Folded Reload
	v_cndmask_b32_e64 v13, v13, v77, s[28:29]
	s_waitcnt vmcnt(4)
	v_accvgpr_read_b32 v73, a13
	scratch_load_dwordx4 a[0:3], off, off offset:992 ; 16-byte Folded Reload
	scratch_load_dwordx4 a[4:7], off, off offset:1008 ; 16-byte Folded Reload
	scratch_load_dwordx4 a[8:11], off, off offset:1024 ; 16-byte Folded Reload
	scratch_load_dwordx4 a[12:15], off, off offset:1040 ; 16-byte Folded Reload
	scratch_load_dwordx4 a[16:19], off, off offset:1056 ; 16-byte Folded Reload
	scratch_load_dwordx4 a[20:23], off, off offset:1072 ; 16-byte Folded Reload
	scratch_load_dwordx4 a[24:27], off, off offset:1088 ; 16-byte Folded Reload
	scratch_load_dwordx4 a[28:31], off, off offset:1104 ; 16-byte Folded Reload
	;; [unrolled: 11-line block ×4, first 2 shown]
	v_cndmask_b32_e64 v15, v15, v70, s[30:31]
	v_cmp_eq_u32_e64 s[30:31], 2, v21
	s_waitcnt vmcnt(4)
	v_accvgpr_read_b32 v68, a14
	scratch_load_dwordx4 a[0:3], off, off offset:352 ; 16-byte Folded Reload
	scratch_load_dwordx4 a[4:7], off, off offset:368 ; 16-byte Folded Reload
	scratch_load_dwordx4 a[8:11], off, off offset:384 ; 16-byte Folded Reload
	scratch_load_dwordx4 a[12:15], off, off offset:400 ; 16-byte Folded Reload
	scratch_load_dwordx4 a[16:19], off, off offset:416 ; 16-byte Folded Reload
	scratch_load_dwordx4 a[20:23], off, off offset:432 ; 16-byte Folded Reload
	scratch_load_dwordx4 a[24:27], off, off offset:448 ; 16-byte Folded Reload
	scratch_load_dwordx4 a[28:31], off, off offset:464 ; 16-byte Folded Reload
	v_cndmask_b32_e64 v15, v15, v68, s[34:35]
	v_cmp_eq_u32_e64 s[34:35], 3, v21
	s_waitcnt vmcnt(3)
	v_accvgpr_read_b32 v19, a17
	scratch_load_dwordx4 a[0:3], off, off offset:480 ; 16-byte Folded Reload
	scratch_load_dwordx4 a[4:7], off, off offset:496 ; 16-byte Folded Reload
	;; [unrolled: 1-line block ×8, first 2 shown]
	v_cndmask_b32_e64 v49, v13, v19, s[38:39]
	v_cndmask_b32_e64 v13, v255, v185, s[4:5]
	;; [unrolled: 1-line block ×9, first 2 shown]
	v_mov_b32_e32 v13, 0
	v_lshl_add_u32 v14, v37, 2, v13
	s_waitcnt vmcnt(3)
	v_accvgpr_read_b32 v66, a16
	v_cndmask_b32_e64 v48, v15, v66, s[38:39]
	v_cndmask_b32_e64 v15, v254, v184, s[4:5]
	;; [unrolled: 1-line block ×9, first 2 shown]
	v_mul_f64 v[56:57], v[56:57], v[50:51]
	v_fmac_f64_e32 v[56:57], v[48:49], v[46:47]
	v_cndmask_b32_e64 v67, v68, v56, s[42:43]
	v_cndmask_b32_e64 v68, v70, v56, s[44:45]
	;; [unrolled: 1-line block ×3, first 2 shown]
	scratch_load_dword v19, v14, off
	v_cmp_eq_u32_e64 s[4:5], 2, v37
	v_cndmask_b32_e64 v78, v196, v56, s[36:37]
	v_cndmask_b32_e64 v79, v197, v57, s[36:37]
	;; [unrolled: 1-line block ×7, first 2 shown]
	v_cmp_eq_u32_e64 s[36:37], 4, v21
	v_cmp_eq_u32_e64 s[38:39], 5, v21
	v_cndmask_b32_e64 v66, v66, v56, s[40:41]
	v_cndmask_b32_e64 v16, v16, v103, s[36:37]
	v_cndmask_b32_e64 v16, v16, v89, s[38:39]
	v_cmp_eq_u32_e64 s[40:41], 6, v21
	v_cndmask_b32_e64 v71, v71, v57, s[42:43]
	v_cmp_eq_u32_e64 s[42:43], 7, v21
	v_cndmask_b32_e64 v16, v16, v88, s[40:41]
	v_cndmask_b32_e64 v72, v73, v57, s[44:45]
	v_cndmask_b32_e32 v76, v84, v56, vcc
	v_cndmask_b32_e64 v50, v108, v52, s[4:5]
	v_cndmask_b32_e64 v84, v109, v53, s[4:5]
	;; [unrolled: 1-line block ×6, first 2 shown]
	v_cmp_eq_u32_e64 s[4:5], 1, v12
	v_cndmask_b32_e64 v16, v16, v87, s[42:43]
	v_cmp_eq_u32_e64 s[44:45], 8, v21
	v_cmp_eq_u32_e64 s[6:7], 2, v12
	v_cmp_eq_u32_e64 s[8:9], 3, v12
	v_cmp_eq_u32_e64 s[10:11], 4, v12
	v_cmp_eq_u32_e64 s[12:13], 5, v12
	v_cmp_eq_u32_e64 s[14:15], 6, v12
	v_cmp_eq_u32_e64 s[16:17], 7, v12
	v_cmp_eq_u32_e64 s[18:19], 8, v12
	v_cndmask_b32_e64 v12, v102, v101, s[4:5]
	v_cndmask_b32_e64 v17, v16, v86, s[44:45]
	;; [unrolled: 1-line block ×18, first 2 shown]
	v_cndmask_b32_e32 v77, v85, v57, vcc
	v_cndmask_b32_e64 v85, v111, v53, s[20:21]
	v_cndmask_b32_e64 v53, v113, v53, s[22:23]
	;; [unrolled: 1-line block ×11, first 2 shown]
	s_waitcnt vmcnt(0)
	v_lshl_add_u32 v13, v19, 2, v13
	scratch_load_dword v48, v13, off
	v_cndmask_b32_e64 v13, v106, v105, s[4:5]
	v_cndmask_b32_e64 v13, v13, v104, s[6:7]
	;; [unrolled: 1-line block ×8, first 2 shown]
	v_add_f64 v[14:15], -v[12:13], 0
	v_add_f64 v[40:41], v[16:17], -v[12:13]
	v_div_scale_f64 v[44:45], s[24:25], v[40:41], v[40:41], v[14:15]
	v_rcp_f64_e32 v[46:47], v[44:45]
	v_cmp_eq_u32_e64 s[20:21], 3, v19
	v_cmp_eq_u32_e64 s[22:23], 2, v19
	;; [unrolled: 1-line block ×3, first 2 shown]
	v_fma_f64 v[32:33], -v[44:45], v[46:47], 1.0
	v_fmac_f64_e32 v[46:47], v[46:47], v[32:33]
	v_fma_f64 v[32:33], -v[44:45], v[46:47], 1.0
	v_fmac_f64_e32 v[46:47], v[46:47], v[32:33]
	v_div_scale_f64 v[32:33], vcc, v[14:15], v[40:41], v[14:15]
	v_cmp_eq_u32_e64 s[28:29], 0, v19
	s_waitcnt vmcnt(0)
	scratch_store_dword off, v48, off offset:92
	v_mul_f64 v[48:49], v[32:33], v[46:47]
	v_fma_f64 v[32:33], -v[44:45], v[48:49], v[32:33]
	v_div_fmas_f64 v[32:33], v[32:33], v[46:47], v[48:49]
	v_div_fixup_f64 v[32:33], v[32:33], v[40:41], v[14:15]
	v_cndmask_b32_e64 v14, v53, v85, s[26:27]
	v_cndmask_b32_e64 v14, v14, v84, s[30:31]
	;; [unrolled: 1-line block ×32, first 2 shown]
	v_add_f64 v[44:45], -v[32:33], 1.0
	v_mul_f64 v[14:15], v[14:15], v[44:45]
	v_fmac_f64_e32 v[14:15], v[40:41], v[32:33]
	v_cmp_eq_u32_e32 vcc, 4, v19
	v_cndmask_b32_e64 v109, v84, v15, s[22:23]
	v_cndmask_b32_e64 v111, v85, v15, s[24:25]
	v_cndmask_b32_e32 v41, v59, v15, vcc
	v_cndmask_b32_e32 v40, v58, v14, vcc
	scratch_store_dwordx4 off, v[32:35], off offset:96 ; 16-byte Folded Spill
	s_nop 0
	scratch_store_dwordx4 off, v[36:39], off offset:112 ; 16-byte Folded Spill
	scratch_store_dwordx4 off, v[40:43], off offset:128 ; 16-byte Folded Spill
	;; [unrolled: 1-line block ×7, first 2 shown]
	v_cndmask_b32_e64 v41, v61, v15, s[20:21]
	v_cndmask_b32_e64 v40, v60, v14, s[20:21]
	scratch_store_dwordx4 off, v[34:37], off offset:224 ; 16-byte Folded Spill
	s_nop 0
	scratch_store_dwordx4 off, v[38:41], off offset:240 ; 16-byte Folded Spill
	scratch_store_dwordx4 off, v[42:45], off offset:256 ; 16-byte Folded Spill
	;; [unrolled: 1-line block ×7, first 2 shown]
	v_cndmask_b32_e64 v46, v55, v93, s[4:5]
	v_cndmask_b32_e64 v40, v55, v93, s[26:27]
	;; [unrolled: 1-line block ×32, first 2 shown]
	v_mul_f64 v[46:47], v[46:47], v[44:45]
	v_cndmask_b32_e64 v48, v57, v107, s[4:5]
	v_fmac_f64_e32 v[46:47], v[40:41], v[32:33]
	v_cndmask_b32_e64 v40, v57, v107, s[26:27]
	v_cndmask_b32_e64 v48, v48, v98, s[6:7]
	;; [unrolled: 1-line block ×33, first 2 shown]
	v_mul_f64 v[50:51], v[48:49], v[44:45]
	v_mul_f64 v[44:45], v[12:13], v[44:45]
	v_cmp_eq_u32_e64 s[8:9], 8, v19
	v_fmac_f64_e32 v[50:51], v[40:41], v[32:33]
	v_fmac_f64_e32 v[44:45], v[16:17], v[32:33]
	v_mov_b32_e32 v13, v37
	v_cndmask_b32_e64 v17, v29, v15, s[8:9]
	v_cndmask_b32_e64 v113, v53, v15, s[28:29]
	;; [unrolled: 1-line block ×3, first 2 shown]
	v_cndmask_b32_e32 v95, v63, v47, vcc
	v_cndmask_b32_e32 v94, v62, v46, vcc
	;; [unrolled: 1-line block ×6, first 2 shown]
	v_cmp_eq_u32_e32 vcc, 7, v19
	v_cmp_eq_u32_e64 s[4:5], 6, v19
	v_cmp_eq_u32_e64 s[6:7], 5, v19
	scratch_store_dwordx4 off, v[0:3], off offset:2016 ; 16-byte Folded Spill
	s_nop 0
	scratch_store_dwordx4 off, v[4:7], off offset:2032 ; 16-byte Folded Spill
	scratch_store_dwordx4 off, v[8:11], off offset:2048 ; 16-byte Folded Spill
	;; [unrolled: 1-line block ×7, first 2 shown]
	v_cndmask_b32_e64 v114, v90, v46, s[22:23]
	v_cndmask_b32_e32 v90, v34, v46, vcc
	v_cndmask_b32_e64 v121, v65, v47, s[20:21]
	v_cndmask_b32_e64 v120, v64, v46, s[20:21]
	;; [unrolled: 1-line block ×26, first 2 shown]
	scratch_store_dwordx4 off, v[0:3], off offset:2144 ; 16-byte Folded Spill
	s_nop 0
	scratch_store_dwordx4 off, v[4:7], off offset:2160 ; 16-byte Folded Spill
	scratch_store_dwordx4 off, v[8:11], off offset:2176 ; 16-byte Folded Spill
	;; [unrolled: 1-line block ×7, first 2 shown]
	v_cndmask_b32_e32 v17, v28, v15, vcc
	v_cndmask_b32_e32 v16, v23, v14, vcc
	v_accvgpr_write_b32 a127, v17
	scratch_store_dwordx4 off, v[2:5], off offset:2272 ; 16-byte Folded Spill
	s_nop 0
	scratch_store_dwordx4 off, v[6:9], off offset:2288 ; 16-byte Folded Spill
	scratch_store_dwordx4 off, v[10:13], off offset:2304 ; 16-byte Folded Spill
	;; [unrolled: 1-line block ×7, first 2 shown]
	v_cndmask_b32_e64 v17, v27, v15, s[4:5]
	v_cndmask_b32_e64 v12, v24, v14, s[4:5]
	v_accvgpr_write_b32 a229, v17
	scratch_store_dwordx4 off, v[0:3], off offset:2400 ; 16-byte Folded Spill
	s_nop 0
	scratch_store_dwordx4 off, v[4:7], off offset:2416 ; 16-byte Folded Spill
	scratch_store_dwordx4 off, v[8:11], off offset:2432 ; 16-byte Folded Spill
	;; [unrolled: 1-line block ×7, first 2 shown]
	v_cndmask_b32_e64 v15, v26, v15, s[6:7]
	v_cndmask_b32_e64 v12, v25, v14, s[6:7]
	v_accvgpr_write_b32 a197, v15
	scratch_store_dwordx4 off, v[2:5], off offset:2528 ; 16-byte Folded Spill
	s_nop 0
	scratch_store_dwordx4 off, v[6:9], off offset:2544 ; 16-byte Folded Spill
	scratch_store_dwordx4 off, v[10:13], off offset:2560 ; 16-byte Folded Spill
	;; [unrolled: 1-line block ×7, first 2 shown]
	v_cndmask_b32_e64 v17, v43, v47, s[8:9]
	scratch_store_dwordx4 off, v[0:3], off offset:1248 ; 16-byte Folded Spill
	s_nop 0
	scratch_store_dwordx4 off, v[4:7], off offset:1264 ; 16-byte Folded Spill
	scratch_store_dwordx4 off, v[8:11], off offset:1280 ; 16-byte Folded Spill
	;; [unrolled: 1-line block ×7, first 2 shown]
	v_cndmask_b32_e64 v16, v35, v46, s[8:9]
	v_cndmask_b32_e32 v15, v42, v47, vcc
	v_accvgpr_write_b32 a32, v16
	scratch_store_dwordx4 off, v[0:3], off offset:1632 ; 16-byte Folded Spill
	s_nop 0
	scratch_store_dwordx4 off, v[4:7], off offset:1648 ; 16-byte Folded Spill
	scratch_store_dwordx4 off, v[8:11], off offset:1664 ; 16-byte Folded Spill
	;; [unrolled: 1-line block ×7, first 2 shown]
	v_cndmask_b32_e64 v15, v39, v47, s[4:5]
	scratch_store_dwordx4 off, v[2:5], off offset:1760 ; 16-byte Folded Spill
	s_nop 0
	scratch_store_dwordx4 off, v[6:9], off offset:1776 ; 16-byte Folded Spill
	scratch_store_dwordx4 off, v[10:13], off offset:1792 ; 16-byte Folded Spill
	;; [unrolled: 1-line block ×7, first 2 shown]
	v_cndmask_b32_e64 v39, v89, v45, s[6:7]
	v_cndmask_b32_e64 v12, v31, v46, s[4:5]
	scratch_store_dwordx4 off, v[0:3], off offset:1376 ; 16-byte Folded Spill
	s_nop 0
	scratch_store_dwordx4 off, v[4:7], off offset:1392 ; 16-byte Folded Spill
	scratch_store_dwordx4 off, v[8:11], off offset:1408 ; 16-byte Folded Spill
	scratch_store_dwordx4 off, v[12:15], off offset:1424 ; 16-byte Folded Spill
	scratch_store_dwordx4 off, v[16:19], off offset:1440 ; 16-byte Folded Spill
	scratch_store_dwordx4 off, v[20:23], off offset:1456 ; 16-byte Folded Spill
	scratch_store_dwordx4 off, v[24:27], off offset:1472 ; 16-byte Folded Spill
	scratch_store_dwordx4 off, v[28:31], off offset:1488 ; 16-byte Folded Spill
	v_cndmask_b32_e64 v15, v38, v47, s[6:7]
	scratch_store_dwordx4 off, v[4:7], off offset:1888 ; 16-byte Folded Spill
	s_nop 0
	scratch_store_dwordx4 off, v[8:11], off offset:1904 ; 16-byte Folded Spill
	scratch_store_dwordx4 off, v[12:15], off offset:1920 ; 16-byte Folded Spill
	scratch_store_dwordx4 off, v[16:19], off offset:1936 ; 16-byte Folded Spill
	scratch_store_dwordx4 off, v[20:23], off offset:1952 ; 16-byte Folded Spill
	scratch_store_dwordx4 off, v[24:27], off offset:1968 ; 16-byte Folded Spill
	scratch_store_dwordx4 off, v[28:31], off offset:1984 ; 16-byte Folded Spill
	scratch_store_dwordx4 off, v[32:35], off offset:2000 ; 16-byte Folded Spill
	;; [unrolled: 10-line block ×5, first 2 shown]
	v_cndmask_b32_e32 v15, v71, v51, vcc
	scratch_store_dwordx4 off, v[0:3], off offset:992 ; 16-byte Folded Spill
	s_nop 0
	scratch_store_dwordx4 off, v[4:7], off offset:1008 ; 16-byte Folded Spill
	scratch_store_dwordx4 off, v[8:11], off offset:1024 ; 16-byte Folded Spill
	scratch_store_dwordx4 off, v[12:15], off offset:1040 ; 16-byte Folded Spill
	scratch_store_dwordx4 off, v[16:19], off offset:1056 ; 16-byte Folded Spill
	scratch_store_dwordx4 off, v[20:23], off offset:1072 ; 16-byte Folded Spill
	scratch_store_dwordx4 off, v[24:27], off offset:1088 ; 16-byte Folded Spill
	scratch_store_dwordx4 off, v[28:31], off offset:1104 ; 16-byte Folded Spill
	v_cndmask_b32_e32 v14, v67, v50, vcc
	scratch_store_dwordx4 off, v[0:3], off offset:864 ; 16-byte Folded Spill
	s_nop 0
	scratch_store_dwordx4 off, v[4:7], off offset:880 ; 16-byte Folded Spill
	scratch_store_dwordx4 off, v[8:11], off offset:896 ; 16-byte Folded Spill
	scratch_store_dwordx4 off, v[12:15], off offset:912 ; 16-byte Folded Spill
	scratch_store_dwordx4 off, v[16:19], off offset:928 ; 16-byte Folded Spill
	scratch_store_dwordx4 off, v[20:23], off offset:944 ; 16-byte Folded Spill
	scratch_store_dwordx4 off, v[24:27], off offset:960 ; 16-byte Folded Spill
	scratch_store_dwordx4 off, v[28:31], off offset:976 ; 16-byte Folded Spill
	v_cndmask_b32_e64 v15, v72, v51, s[4:5]
	scratch_store_dwordx4 off, v[2:5], off offset:736 ; 16-byte Folded Spill
	s_nop 0
	scratch_store_dwordx4 off, v[6:9], off offset:752 ; 16-byte Folded Spill
	scratch_store_dwordx4 off, v[10:13], off offset:768 ; 16-byte Folded Spill
	scratch_store_dwordx4 off, v[14:17], off offset:784 ; 16-byte Folded Spill
	scratch_store_dwordx4 off, v[18:21], off offset:800 ; 16-byte Folded Spill
	scratch_store_dwordx4 off, v[22:25], off offset:816 ; 16-byte Folded Spill
	scratch_store_dwordx4 off, v[26:29], off offset:832 ; 16-byte Folded Spill
	scratch_store_dwordx4 off, v[30:33], off offset:848 ; 16-byte Folded Spill
	v_cndmask_b32_e64 v12, v68, v50, s[4:5]
	scratch_store_dwordx4 off, v[0:3], off offset:608 ; 16-byte Folded Spill
	s_nop 0
	scratch_store_dwordx4 off, v[4:7], off offset:624 ; 16-byte Folded Spill
	scratch_store_dwordx4 off, v[8:11], off offset:640 ; 16-byte Folded Spill
	scratch_store_dwordx4 off, v[12:15], off offset:656 ; 16-byte Folded Spill
	scratch_store_dwordx4 off, v[16:19], off offset:672 ; 16-byte Folded Spill
	scratch_store_dwordx4 off, v[20:23], off offset:688 ; 16-byte Folded Spill
	scratch_store_dwordx4 off, v[24:27], off offset:704 ; 16-byte Folded Spill
	scratch_store_dwordx4 off, v[28:31], off offset:720 ; 16-byte Folded Spill
	v_cndmask_b32_e64 v15, v73, v51, s[6:7]
	scratch_store_dwordx4 off, v[4:7], off offset:1120 ; 16-byte Folded Spill
	s_nop 0
	scratch_store_dwordx4 off, v[8:11], off offset:1136 ; 16-byte Folded Spill
	scratch_store_dwordx4 off, v[12:15], off offset:1152 ; 16-byte Folded Spill
	scratch_store_dwordx4 off, v[16:19], off offset:1168 ; 16-byte Folded Spill
	scratch_store_dwordx4 off, v[20:23], off offset:1184 ; 16-byte Folded Spill
	scratch_store_dwordx4 off, v[24:27], off offset:1200 ; 16-byte Folded Spill
	scratch_store_dwordx4 off, v[28:31], off offset:1216 ; 16-byte Folded Spill
	scratch_store_dwordx4 off, v[32:35], off offset:1232 ; 16-byte Folded Spill
	v_cndmask_b32_e64 v17, v86, v45, s[8:9]
	v_cndmask_b32_e32 v14, v81, v44, vcc
	v_cndmask_b32_e64 v12, v82, v44, s[4:5]
	v_accvgpr_write_b32 a49, v17
	v_cndmask_b32_e64 v32, v80, v44, s[8:9]
	v_cndmask_b32_e32 v29, v87, v45, vcc
	v_accvgpr_write_b32 a96, v14
	v_cndmask_b32_e64 v31, v88, v45, s[4:5]
	v_accvgpr_write_b32 a110, v12
.LBB4_106:
	s_or_b64 exec, exec, s[52:53]
	scratch_store_dword off, v18, off offset:88
	s_and_saveexec_b64 s[14:15], s[0:1]
	s_cbranch_execz .LBB4_115
; %bb.107:
	s_mov_b64 s[16:17], 0
	v_mov_b32_e32 v12, 0
	s_branch .LBB4_109
.LBB4_108:                              ;   in Loop: Header=BB4_109 Depth=1
	s_or_b64 exec, exec, s[4:5]
	s_waitcnt vmcnt(0)
	v_cmp_gt_i32_e32 vcc, 0, v15
	s_or_b64 s[16:17], vcc, s[16:17]
	v_mov_b32_e32 v36, v15
	s_andn2_b64 exec, exec, s[16:17]
	s_cbranch_execz .LBB4_115
.LBB4_109:                              ; =>This Inner Loop Header: Depth=1
	v_cmp_eq_u32_e32 vcc, 1, v36
	v_cmp_eq_u32_e64 s[0:1], 2, v36
	v_cmp_eq_u32_e64 s[4:5], 3, v36
	v_cndmask_b32_e32 v15, v189, v175, vcc
	v_cndmask_b32_e32 v16, v188, v174, vcc
	v_cndmask_b32_e64 v15, v15, v187, s[0:1]
	v_cndmask_b32_e64 v16, v16, v186, s[0:1]
	;; [unrolled: 1-line block ×3, first 2 shown]
	v_cmp_eq_u32_e64 s[6:7], 4, v36
	v_cndmask_b32_e64 v16, v16, v228, s[4:5]
	v_cmp_eq_u32_e64 s[8:9], 5, v36
	v_cndmask_b32_e64 v15, v15, v119, s[6:7]
	v_cndmask_b32_e64 v16, v16, v118, s[6:7]
	;; [unrolled: 1-line block ×3, first 2 shown]
	v_cmp_eq_u32_e64 s[10:11], 6, v36
	v_cndmask_b32_e64 v16, v16, v152, s[8:9]
	v_accvgpr_read_b32 v14, a110
	v_cndmask_b32_e64 v15, v15, v31, s[10:11]
	v_cmp_eq_u32_e64 s[12:13], 7, v36
	v_cndmask_b32_e64 v16, v16, v14, s[10:11]
	v_accvgpr_read_b32 v14, a96
	v_cndmask_b32_e64 v15, v15, v29, s[12:13]
	v_cndmask_b32_e64 v16, v16, v14, s[12:13]
	v_cmp_eq_u32_e32 vcc, 8, v36
	v_accvgpr_read_b32 v17, a49
	s_mov_b64 s[0:1], 0
	v_cndmask_b32_e32 v17, v15, v17, vcc
	v_cndmask_b32_e32 v16, v16, v32, vcc
	v_cmp_ngt_f64_e32 vcc, 0, v[16:17]
	v_lshl_add_u32 v17, v36, 2, v12
	scratch_load_dword v15, v17, off
                                        ; implicit-def: $vgpr16
	s_and_saveexec_b64 s[4:5], vcc
	s_xor_b64 s[4:5], exec, s[4:5]
	s_cbranch_execnz .LBB4_112
; %bb.110:                              ;   in Loop: Header=BB4_109 Depth=1
	s_andn2_saveexec_b64 s[4:5], s[4:5]
	s_cbranch_execnz .LBB4_113
.LBB4_111:                              ;   in Loop: Header=BB4_109 Depth=1
	s_or_b64 exec, exec, s[4:5]
	s_and_saveexec_b64 s[4:5], s[0:1]
	s_cbranch_execz .LBB4_108
	s_branch .LBB4_114
.LBB4_112:                              ;   in Loop: Header=BB4_109 Depth=1
	scratch_load_dword v16, off, off offset:88
                                        ; implicit-def: $vgpr17
	s_waitcnt vmcnt(0)
	v_cmp_eq_u32_e32 vcc, -1, v16
	v_mov_b32_e32 v16, 0x58
	s_and_b64 s[0:1], vcc, exec
	s_andn2_saveexec_b64 s[4:5], s[4:5]
	s_cbranch_execz .LBB4_111
.LBB4_113:                              ;   in Loop: Header=BB4_109 Depth=1
	scratch_load_dword v18, off, off offset:92
	v_mov_b32_e32 v16, 0x5c
	s_or_b64 s[0:1], s[0:1], exec
	s_waitcnt vmcnt(0)
	scratch_store_dword v17, v18, off
	s_or_b64 exec, exec, s[4:5]
	s_and_saveexec_b64 s[4:5], s[0:1]
	s_cbranch_execz .LBB4_108
.LBB4_114:                              ;   in Loop: Header=BB4_109 Depth=1
	scratch_store_dword v16, v36, off
	s_branch .LBB4_108
.LBB4_115:
	s_or_b64 exec, exec, s[14:15]
	s_and_saveexec_b64 s[0:1], s[2:3]
	s_cbranch_execz .LBB4_117
; %bb.116:
	v_max_f64 v[8:9], v[8:9], v[8:9]
	v_max_f64 v[10:11], v[10:11], v[10:11]
	v_mov_b32_e32 v12, 0
	v_min_f64 v[8:9], v[10:11], v[8:9]
	v_lshl_add_u32 v14, v20, 2, v12
	v_cmp_ngt_f64_e32 vcc, 0, v[8:9]
	v_lshl_add_u32 v15, v13, 2, v12
	v_lshl_add_u32 v9, v19, 2, v12
	v_cndmask_b32_e32 v8, -1, v21, vcc
	scratch_store_dword v14, v13, off
	scratch_store_dword v15, v19, off
	;; [unrolled: 1-line block ×3, first 2 shown]
.LBB4_117:
	s_or_b64 exec, exec, s[0:1]
	scratch_load_dword v8, off, off offset:88
	s_waitcnt vmcnt(0)
	v_cmp_lt_i32_e32 vcc, -1, v8
	s_and_saveexec_b64 s[16:17], vcc
	s_cbranch_execz .LBB4_121
; %bb.118:
	scratch_load_dwordx4 v[12:15], off, off offset:224 ; 16-byte Folded Reload
	scratch_load_dwordx4 v[16:19], off, off offset:240 ; 16-byte Folded Reload
	;; [unrolled: 1-line block ×24, first 2 shown]
	s_mov_b64 s[18:19], 0
	v_mov_b32_e32 v9, 0
	v_mov_b32_e32 v10, v8
	s_waitcnt vmcnt(22)
	v_mov_b64_e32 v[16:17], v[18:19]
	s_waitcnt vmcnt(13)
	v_mov_b64_e32 v[18:19], v[58:59]
	s_waitcnt vmcnt(3)
	v_mov_b32_e32 v21, v37
	scratch_load_dwordx4 v[22:25], off, off offset:992 ; 16-byte Folded Reload
	scratch_load_dwordx4 v[26:29], off, off offset:1008 ; 16-byte Folded Reload
	scratch_load_dwordx4 v[30:33], off, off offset:1024 ; 16-byte Folded Reload
	scratch_load_dwordx4 v[34:37], off, off offset:1040 ; 16-byte Folded Reload
	scratch_load_dwordx4 v[38:41], off, off offset:1056 ; 16-byte Folded Reload
	scratch_load_dwordx4 v[42:45], off, off offset:1072 ; 16-byte Folded Reload
	scratch_load_dwordx4 v[46:49], off, off offset:1088 ; 16-byte Folded Reload
	scratch_load_dwordx4 v[50:53], off, off offset:1104 ; 16-byte Folded Reload
	s_waitcnt vmcnt(4)
	v_mov_b32_e32 v23, v37
	scratch_load_dwordx4 v[24:27], off, off offset:736 ; 16-byte Folded Reload
	scratch_load_dwordx4 v[28:31], off, off offset:752 ; 16-byte Folded Reload
	scratch_load_dwordx4 v[32:35], off, off offset:768 ; 16-byte Folded Reload
	scratch_load_dwordx4 v[36:39], off, off offset:784 ; 16-byte Folded Reload
	scratch_load_dwordx4 v[40:43], off, off offset:800 ; 16-byte Folded Reload
	scratch_load_dwordx4 v[44:47], off, off offset:816 ; 16-byte Folded Reload
	scratch_load_dwordx4 v[48:51], off, off offset:832 ; 16-byte Folded Reload
	scratch_load_dwordx4 v[52:55], off, off offset:848 ; 16-byte Folded Reload
	s_waitcnt vmcnt(4)
	v_mov_b32_e32 v25, v37
	scratch_load_dwordx4 v[26:29], off, off offset:1120 ; 16-byte Folded Reload
	scratch_load_dwordx4 v[30:33], off, off offset:1136 ; 16-byte Folded Reload
	scratch_load_dwordx4 v[34:37], off, off offset:1152 ; 16-byte Folded Reload
	scratch_load_dwordx4 v[38:41], off, off offset:1168 ; 16-byte Folded Reload
	scratch_load_dwordx4 v[42:45], off, off offset:1184 ; 16-byte Folded Reload
	scratch_load_dwordx4 v[46:49], off, off offset:1200 ; 16-byte Folded Reload
	scratch_load_dwordx4 v[50:53], off, off offset:1216 ; 16-byte Folded Reload
	scratch_load_dwordx4 v[54:57], off, off offset:1232 ; 16-byte Folded Reload
	s_waitcnt vmcnt(7)
	v_accvgpr_read_b32 v26, a32
	s_waitcnt vmcnt(5)
	v_mov_b32_e32 v27, v37
	scratch_load_dwordx4 v[28:31], off, off offset:480 ; 16-byte Folded Reload
	scratch_load_dwordx4 v[32:35], off, off offset:496 ; 16-byte Folded Reload
	scratch_load_dwordx4 v[36:39], off, off offset:512 ; 16-byte Folded Reload
	scratch_load_dwordx4 v[40:43], off, off offset:528 ; 16-byte Folded Reload
	scratch_load_dwordx4 v[44:47], off, off offset:544 ; 16-byte Folded Reload
	scratch_load_dwordx4 v[48:51], off, off offset:560 ; 16-byte Folded Reload
	scratch_load_dwordx4 v[52:55], off, off offset:576 ; 16-byte Folded Reload
	scratch_load_dwordx4 v[56:59], off, off offset:592 ; 16-byte Folded Reload
	s_waitcnt vmcnt(3)
	v_mov_b32_e32 v20, v44
	scratch_load_dwordx4 v[28:31], off, off offset:864 ; 16-byte Folded Reload
	scratch_load_dwordx4 v[32:35], off, off offset:880 ; 16-byte Folded Reload
	scratch_load_dwordx4 v[36:39], off, off offset:896 ; 16-byte Folded Reload
	scratch_load_dwordx4 v[40:43], off, off offset:912 ; 16-byte Folded Reload
	scratch_load_dwordx4 v[44:47], off, off offset:928 ; 16-byte Folded Reload
	scratch_load_dwordx4 v[48:51], off, off offset:944 ; 16-byte Folded Reload
	scratch_load_dwordx4 v[52:55], off, off offset:960 ; 16-byte Folded Reload
	scratch_load_dwordx4 v[56:59], off, off offset:976 ; 16-byte Folded Reload
	s_waitcnt vmcnt(4)
	v_mov_b32_e32 v22, v42
	scratch_load_dwordx4 v[28:31], off, off offset:608 ; 16-byte Folded Reload
	scratch_load_dwordx4 v[32:35], off, off offset:624 ; 16-byte Folded Reload
	scratch_load_dwordx4 v[36:39], off, off offset:640 ; 16-byte Folded Reload
	scratch_load_dwordx4 v[40:43], off, off offset:656 ; 16-byte Folded Reload
	scratch_load_dwordx4 v[44:47], off, off offset:672 ; 16-byte Folded Reload
	scratch_load_dwordx4 v[48:51], off, off offset:688 ; 16-byte Folded Reload
	scratch_load_dwordx4 v[52:55], off, off offset:704 ; 16-byte Folded Reload
	scratch_load_dwordx4 v[56:59], off, off offset:720 ; 16-byte Folded Reload
	s_waitcnt vmcnt(4)
	v_mov_b32_e32 v24, v40
	scratch_load_dwordx4 v[28:31], off, off offset:1248 ; 16-byte Folded Reload
	scratch_load_dwordx4 v[32:35], off, off offset:1264 ; 16-byte Folded Reload
	scratch_load_dwordx4 v[36:39], off, off offset:1280 ; 16-byte Folded Reload
	scratch_load_dwordx4 v[40:43], off, off offset:1296 ; 16-byte Folded Reload
	scratch_load_dwordx4 v[44:47], off, off offset:1312 ; 16-byte Folded Reload
	scratch_load_dwordx4 v[48:51], off, off offset:1328 ; 16-byte Folded Reload
	scratch_load_dwordx4 v[52:55], off, off offset:1344 ; 16-byte Folded Reload
	scratch_load_dwordx4 v[56:59], off, off offset:1360 ; 16-byte Folded Reload
	s_waitcnt vmcnt(7)
	v_mov_b32_e32 v28, v90
	s_waitcnt vmcnt(3)
	v_mov_b32_e32 v29, v45
	scratch_load_dwordx4 v[30:33], off, off offset:1632 ; 16-byte Folded Reload
	scratch_load_dwordx4 v[34:37], off, off offset:1648 ; 16-byte Folded Reload
	;; [unrolled: 1-line block ×8, first 2 shown]
	s_waitcnt vmcnt(4)
	v_mov_b32_e32 v31, v45
	scratch_load_dwordx4 v[32:35], off, off offset:1760 ; 16-byte Folded Reload
	scratch_load_dwordx4 v[36:39], off, off offset:1776 ; 16-byte Folded Reload
	;; [unrolled: 1-line block ×8, first 2 shown]
	s_waitcnt vmcnt(7)
	v_mov_b64_e32 v[32:33], v[120:121]
	s_waitcnt vmcnt(4)
	v_mov_b32_e32 v35, v45
	scratch_load_dwordx4 v[36:39], off, off offset:1888 ; 16-byte Folded Reload
	scratch_load_dwordx4 v[40:43], off, off offset:1904 ; 16-byte Folded Reload
	scratch_load_dwordx4 v[44:47], off, off offset:1920 ; 16-byte Folded Reload
	scratch_load_dwordx4 v[48:51], off, off offset:1936 ; 16-byte Folded Reload
	scratch_load_dwordx4 v[52:55], off, off offset:1952 ; 16-byte Folded Reload
	scratch_load_dwordx4 v[56:59], off, off offset:1968 ; 16-byte Folded Reload
	scratch_load_dwordx4 v[60:63], off, off offset:1984 ; 16-byte Folded Reload
	scratch_load_dwordx4 v[64:67], off, off offset:2000 ; 16-byte Folded Reload
	s_waitcnt vmcnt(5)
	v_mov_b32_e32 v37, v47
	scratch_load_dwordx4 v[38:41], off, off offset:1376 ; 16-byte Folded Reload
	scratch_load_dwordx4 v[42:45], off, off offset:1392 ; 16-byte Folded Reload
	scratch_load_dwordx4 v[46:49], off, off offset:1408 ; 16-byte Folded Reload
	scratch_load_dwordx4 v[50:53], off, off offset:1424 ; 16-byte Folded Reload
	scratch_load_dwordx4 v[54:57], off, off offset:1440 ; 16-byte Folded Reload
	scratch_load_dwordx4 v[58:61], off, off offset:1456 ; 16-byte Folded Reload
	scratch_load_dwordx4 v[62:65], off, off offset:1472 ; 16-byte Folded Reload
	scratch_load_dwordx4 v[66:69], off, off offset:1488 ; 16-byte Folded Reload
	;; [unrolled: 10-line block ×4, first 2 shown]
	s_waitcnt vmcnt(7)
	v_accvgpr_read_b32 v41, a127
	s_waitcnt vmcnt(6)
	v_accvgpr_read_b32 v43, a229
	v_accvgpr_read_b32 v45, a197
	s_waitcnt vmcnt(3)
	v_mov_b32_e32 v39, v55
	scratch_load_dwordx4 v[46:49], off, off offset:2144 ; 16-byte Folded Reload
	scratch_load_dwordx4 v[50:53], off, off offset:2160 ; 16-byte Folded Reload
	scratch_load_dwordx4 v[54:57], off, off offset:2176 ; 16-byte Folded Reload
	scratch_load_dwordx4 v[58:61], off, off offset:2192 ; 16-byte Folded Reload
	scratch_load_dwordx4 v[62:65], off, off offset:2208 ; 16-byte Folded Reload
	scratch_load_dwordx4 v[66:69], off, off offset:2224 ; 16-byte Folded Reload
	scratch_load_dwordx4 v[70:73], off, off offset:2240 ; 16-byte Folded Reload
	scratch_load_dwordx4 v[74:77], off, off offset:2256 ; 16-byte Folded Reload
	s_waitcnt vmcnt(3)
	v_mov_b32_e32 v36, v62
	scratch_load_dwordx4 v[46:49], off, off offset:2272 ; 16-byte Folded Reload
	scratch_load_dwordx4 v[50:53], off, off offset:2288 ; 16-byte Folded Reload
	scratch_load_dwordx4 v[54:57], off, off offset:2304 ; 16-byte Folded Reload
	scratch_load_dwordx4 v[58:61], off, off offset:2320 ; 16-byte Folded Reload
	scratch_load_dwordx4 v[62:65], off, off offset:2336 ; 16-byte Folded Reload
	scratch_load_dwordx4 v[66:69], off, off offset:2352 ; 16-byte Folded Reload
	scratch_load_dwordx4 v[70:73], off, off offset:2368 ; 16-byte Folded Reload
	scratch_load_dwordx4 v[74:77], off, off offset:2384 ; 16-byte Folded Reload
	;; [unrolled: 10-line block ×4, first 2 shown]
	s_waitcnt vmcnt(5)
	v_mov_b32_e32 v42, v56
.LBB4_119:                              ; =>This Inner Loop Header: Depth=1
	v_cmp_eq_u32_e32 vcc, 1, v10
	v_cmp_eq_u32_e64 s[0:1], 2, v10
	v_cmp_eq_u32_e64 s[2:3], 3, v10
	v_cmp_eq_u32_e64 s[4:5], 4, v10
	v_cmp_eq_u32_e64 s[6:7], 5, v10
	v_cmp_eq_u32_e64 s[8:9], 6, v10
	v_cmp_eq_u32_e64 s[10:11], 7, v10
	v_cmp_eq_u32_e64 s[12:13], 8, v10
	v_cmp_eq_u32_e64 s[14:15], 0, v10
	v_lshl_add_u32 v10, v10, 2, v9
	scratch_load_dword v10, v10, off
	v_cndmask_b32_e32 v11, v113, v111, vcc
	v_cndmask_b32_e64 v11, v11, v109, s[0:1]
	v_cndmask_b32_e64 v11, v11, v17, s[2:3]
	;; [unrolled: 1-line block ×5, first 2 shown]
	v_cndmask_b32_e32 v12, v112, v110, vcc
	v_cndmask_b32_e64 v11, v11, v41, s[10:11]
	v_cndmask_b32_e64 v12, v12, v108, s[0:1]
	v_cndmask_b32_e64 v13, v11, v39, s[12:13]
	v_cndmask_b32_e32 v11, v179, v117, vcc
	v_cndmask_b32_e32 v14, v178, v116, vcc
	v_cndmask_b32_e64 v12, v12, v16, s[2:3]
	v_cndmask_b32_e64 v11, v11, v115, s[0:1]
	;; [unrolled: 1-line block ×20, first 2 shown]
	v_add_f64 v[12:13], -v[12:13], 1.0
	v_add_f64 v[12:13], v[12:13], -v[14:15]
	v_cndmask_b32_e32 v185, v185, v13, vcc
	v_cndmask_b32_e32 v184, v184, v12, vcc
	v_cndmask_b32_e64 v21, v21, v13, s[12:13]
	v_cndmask_b32_e64 v20, v20, v12, s[12:13]
	;; [unrolled: 1-line block ×16, first 2 shown]
	s_waitcnt vmcnt(0)
	v_cmp_gt_i32_e32 vcc, 0, v10
	s_or_b64 s[18:19], vcc, s[18:19]
	s_andn2_b64 exec, exec, s[18:19]
	s_cbranch_execnz .LBB4_119
; %bb.120:
	s_or_b64 exec, exec, s[18:19]
	scratch_store_dwordx4 off, v[12:15], off offset:608 ; 16-byte Folded Spill
	s_nop 0
	scratch_store_dwordx4 off, v[16:19], off offset:624 ; 16-byte Folded Spill
	scratch_store_dwordx4 off, v[20:23], off offset:640 ; 16-byte Folded Spill
	scratch_store_dwordx4 off, v[24:27], off offset:656 ; 16-byte Folded Spill
	scratch_store_dwordx4 off, v[28:31], off offset:672 ; 16-byte Folded Spill
	scratch_store_dwordx4 off, v[32:35], off offset:688 ; 16-byte Folded Spill
	scratch_store_dwordx4 off, v[36:39], off offset:704 ; 16-byte Folded Spill
	scratch_store_dwordx4 off, v[40:43], off offset:720 ; 16-byte Folded Spill
	scratch_store_dwordx4 off, v[8:11], off offset:864 ; 16-byte Folded Spill
	s_nop 0
	scratch_store_dwordx4 off, v[12:15], off offset:880 ; 16-byte Folded Spill
	scratch_store_dwordx4 off, v[16:19], off offset:896 ; 16-byte Folded Spill
	scratch_store_dwordx4 off, v[20:23], off offset:912 ; 16-byte Folded Spill
	scratch_store_dwordx4 off, v[24:27], off offset:928 ; 16-byte Folded Spill
	scratch_store_dwordx4 off, v[28:31], off offset:944 ; 16-byte Folded Spill
	scratch_store_dwordx4 off, v[32:35], off offset:960 ; 16-byte Folded Spill
	scratch_store_dwordx4 off, v[36:39], off offset:976 ; 16-byte Folded Spill
	;; [unrolled: 9-line block ×7, first 2 shown]
.LBB4_121:
	s_or_b64 exec, exec, s[16:17]
	v_cmp_lt_i32_e32 vcc, -1, v8
	s_and_saveexec_b64 s[14:15], vcc
	s_cbranch_execz .LBB4_127
; %bb.122:
	v_mov_b32_e32 v30, 0
	v_lshl_add_u32 v9, v8, 2, v30
	scratch_load_dword v14, v9, off
	s_waitcnt vmcnt(0)
	v_lshl_add_u32 v9, v14, 2, v30
	scratch_load_dword v31, v9, off
	s_waitcnt vmcnt(0)
	v_cmp_lt_i32_e32 vcc, -1, v31
	s_and_saveexec_b64 s[16:17], vcc
	s_cbranch_execz .LBB4_126
; %bb.123:
	scratch_load_dwordx4 v[46:49], off, off offset:224 ; 16-byte Folded Reload
	scratch_load_dwordx4 v[50:53], off, off offset:240 ; 16-byte Folded Reload
	;; [unrolled: 1-line block ×16, first 2 shown]
	v_cmp_eq_u32_e32 vcc, 1, v8
	v_cmp_eq_u32_e64 s[0:1], 2, v8
	v_cmp_eq_u32_e64 s[2:3], 3, v8
	v_cndmask_b32_e32 v10, v179, v117, vcc
	v_cndmask_b32_e32 v11, v178, v116, vcc
	v_cndmask_b32_e64 v10, v10, v115, s[0:1]
	v_cndmask_b32_e64 v11, v11, v114, s[0:1]
	v_cmp_eq_u32_e64 s[4:5], 4, v8
	v_cndmask_b32_e64 v10, v10, v121, s[2:3]
	v_cndmask_b32_e64 v11, v11, v120, s[2:3]
	v_cmp_eq_u32_e64 s[6:7], 5, v8
	;; [unrolled: 3-line block ×3, first 2 shown]
	v_cmp_eq_u32_e64 s[10:11], 7, v8
	v_cmp_eq_u32_e64 s[12:13], 8, v8
	s_waitcnt vmcnt(11)
	v_accvgpr_read_b32 v62, a32
	v_cndmask_b32_e32 v9, v113, v111, vcc
	v_cndmask_b32_e32 v8, v112, v110, vcc
	;; [unrolled: 1-line block ×3, first 2 shown]
	v_cndmask_b32_e64 v9, v9, v109, s[0:1]
	v_cndmask_b32_e64 v8, v8, v108, s[0:1]
	;; [unrolled: 1-line block ×4, first 2 shown]
	s_waitcnt vmcnt(9)
	v_accvgpr_read_b32 v73, a197
	v_cndmask_b32_e64 v13, v13, v84, s[4:5]
	v_accvgpr_read_b32 v49, a229
	v_cndmask_b32_e64 v13, v13, v130, s[6:7]
	v_accvgpr_read_b32 v41, a127
	s_mov_b64 s[18:19], 0
	v_cndmask_b32_e64 v9, v9, v53, s[2:3]
	s_waitcnt vmcnt(5)
	v_mov_b64_e32 v[54:55], v[140:141]
	scratch_load_dwordx4 v[132:135], off, off offset:2528 ; 16-byte Folded Reload
	scratch_load_dwordx4 v[136:139], off, off offset:2544 ; 16-byte Folded Reload
	;; [unrolled: 1-line block ×8, first 2 shown]
	v_cndmask_b32_e64 v8, v8, v52, s[2:3]
	v_cndmask_b32_e64 v9, v9, v55, s[4:5]
	;; [unrolled: 1-line block ×6, first 2 shown]
	s_waitcnt vmcnt(5)
	v_mov_b32_e32 v68, v142
	scratch_load_dwordx4 v[132:135], off, off offset:2400 ; 16-byte Folded Reload
	scratch_load_dwordx4 v[136:139], off, off offset:2416 ; 16-byte Folded Reload
	scratch_load_dwordx4 v[140:143], off, off offset:2432 ; 16-byte Folded Reload
	scratch_load_dwordx4 v[144:147], off, off offset:2448 ; 16-byte Folded Reload
	scratch_load_dwordx4 v[148:151], off, off offset:2464 ; 16-byte Folded Reload
	scratch_load_dwordx4 v[152:155], off, off offset:2480 ; 16-byte Folded Reload
	scratch_load_dwordx4 v[156:159], off, off offset:2496 ; 16-byte Folded Reload
	scratch_load_dwordx4 v[160:163], off, off offset:2512 ; 16-byte Folded Reload
	v_cndmask_b32_e64 v8, v8, v68, s[6:7]
	s_waitcnt vmcnt(4)
	v_mov_b32_e32 v66, v144
	scratch_load_dwordx4 v[132:135], off, off offset:2272 ; 16-byte Folded Reload
	scratch_load_dwordx4 v[136:139], off, off offset:2288 ; 16-byte Folded Reload
	scratch_load_dwordx4 v[140:143], off, off offset:2304 ; 16-byte Folded Reload
	scratch_load_dwordx4 v[144:147], off, off offset:2320 ; 16-byte Folded Reload
	scratch_load_dwordx4 v[148:151], off, off offset:2336 ; 16-byte Folded Reload
	scratch_load_dwordx4 v[152:155], off, off offset:2352 ; 16-byte Folded Reload
	scratch_load_dwordx4 v[156:159], off, off offset:2368 ; 16-byte Folded Reload
	scratch_load_dwordx4 v[160:163], off, off offset:2384 ; 16-byte Folded Reload
	v_cndmask_b32_e64 v8, v8, v66, s[8:9]
	;; [unrolled: 11-line block ×10, first 2 shown]
	v_cndmask_b32_e64 v12, v11, v90, s[10:11]
	s_waitcnt vmcnt(3)
	v_mov_b32_e32 v65, v149
	scratch_load_dwordx4 v[132:135], off, off offset:1120 ; 16-byte Folded Reload
	scratch_load_dwordx4 v[136:139], off, off offset:1136 ; 16-byte Folded Reload
	;; [unrolled: 1-line block ×8, first 2 shown]
	v_cndmask_b32_e64 v11, v10, v65, s[12:13]
	v_cndmask_b32_e64 v10, v12, v62, s[12:13]
	v_cndmask_b32_e32 v12, v255, v185, vcc
	v_cmp_eq_u32_e32 vcc, 1, v14
	v_cndmask_b32_e64 v12, v12, v181, s[0:1]
	v_cmp_eq_u32_e64 s[0:1], 2, v14
	v_cndmask_b32_e32 v16, v113, v111, vcc
	v_cndmask_b32_e32 v17, v112, v110, vcc
	v_cndmask_b32_e64 v12, v12, v197, s[2:3]
	v_cmp_eq_u32_e64 s[2:3], 3, v14
	v_cndmask_b32_e64 v16, v16, v109, s[0:1]
	v_cndmask_b32_e64 v17, v17, v108, s[0:1]
	;; [unrolled: 1-line block ×3, first 2 shown]
	v_cmp_eq_u32_e64 s[4:5], 4, v14
	v_cndmask_b32_e64 v16, v16, v53, s[2:3]
	v_cndmask_b32_e64 v17, v17, v52, s[2:3]
	;; [unrolled: 1-line block ×4, first 2 shown]
	s_waitcnt vmcnt(5)
	v_mov_b32_e32 v63, v143
	scratch_load_dwordx4 v[132:135], off, off offset:736 ; 16-byte Folded Reload
	scratch_load_dwordx4 v[136:139], off, off offset:752 ; 16-byte Folded Reload
	;; [unrolled: 1-line block ×8, first 2 shown]
	v_cndmask_b32_e64 v12, v12, v63, s[6:7]
	v_cmp_eq_u32_e64 s[6:7], 5, v14
	s_waitcnt vmcnt(4)
	v_mov_b32_e32 v61, v145
	scratch_load_dwordx4 v[132:135], off, off offset:992 ; 16-byte Folded Reload
	scratch_load_dwordx4 v[136:139], off, off offset:1008 ; 16-byte Folded Reload
	;; [unrolled: 1-line block ×8, first 2 shown]
	v_cndmask_b32_e64 v12, v12, v61, s[8:9]
	v_cndmask_b32_e64 v16, v16, v73, s[6:7]
	;; [unrolled: 1-line block ×3, first 2 shown]
	s_waitcnt vmcnt(4)
	v_mov_b32_e32 v59, v147
	scratch_load_dwordx4 v[132:135], off, off offset:608 ; 16-byte Folded Reload
	scratch_load_dwordx4 v[136:139], off, off offset:624 ; 16-byte Folded Reload
	;; [unrolled: 1-line block ×8, first 2 shown]
	v_cndmask_b32_e64 v12, v12, v59, s[10:11]
	s_waitcnt vmcnt(4)
	v_mov_b32_e32 v60, v144
	scratch_load_dwordx4 v[132:135], off, off offset:864 ; 16-byte Folded Reload
	scratch_load_dwordx4 v[136:139], off, off offset:880 ; 16-byte Folded Reload
	;; [unrolled: 1-line block ×8, first 2 shown]
	v_cndmask_b32_e64 v13, v13, v60, s[8:9]
	v_cmp_eq_u32_e64 s[8:9], 6, v14
	s_waitcnt vmcnt(4)
	v_mov_b32_e32 v58, v146
	scratch_load_dwordx4 v[132:135], off, off offset:352 ; 16-byte Folded Reload
	scratch_load_dwordx4 v[136:139], off, off offset:368 ; 16-byte Folded Reload
	;; [unrolled: 1-line block ×8, first 2 shown]
	v_cndmask_b32_e64 v15, v13, v58, s[10:11]
	v_cmp_eq_u32_e64 s[10:11], 7, v14
	v_cndmask_b32_e64 v16, v16, v49, s[8:9]
	v_cndmask_b32_e64 v17, v17, v66, s[8:9]
	;; [unrolled: 1-line block ×4, first 2 shown]
	s_waitcnt vmcnt(3)
	v_mov_b32_e32 v57, v149
	scratch_load_dwordx4 v[132:135], off, off offset:480 ; 16-byte Folded Reload
	scratch_load_dwordx4 v[136:139], off, off offset:496 ; 16-byte Folded Reload
	;; [unrolled: 1-line block ×8, first 2 shown]
	v_cndmask_b32_e64 v13, v12, v57, s[12:13]
	s_waitcnt vmcnt(3)
	v_mov_b32_e32 v56, v148
	v_cndmask_b32_e64 v12, v15, v56, s[12:13]
	v_cndmask_b32_e32 v15, v179, v117, vcc
	v_cmp_eq_u32_e64 s[12:13], 8, v14
	v_cndmask_b32_e32 v14, v178, v116, vcc
	v_cndmask_b32_e64 v15, v15, v115, s[0:1]
	v_cndmask_b32_e64 v14, v14, v114, s[0:1]
	;; [unrolled: 1-line block ×4, first 2 shown]
	v_cndmask_b32_e32 v16, v255, v185, vcc
	v_cndmask_b32_e32 v17, v254, v184, vcc
	v_cndmask_b32_e64 v15, v15, v121, s[2:3]
	v_cndmask_b32_e64 v14, v14, v120, s[2:3]
	;; [unrolled: 1-line block ×26, first 2 shown]
	v_add_f64 v[28:29], v[14:15], -v[10:11]
	v_add_f64 v[26:27], v[22:23], -v[8:9]
	v_mul_f64 v[16:17], v[8:9], v[12:13]
	v_mul_f64 v[18:19], v[10:11], v[12:13]
	;; [unrolled: 1-line block ×3, first 2 shown]
.LBB4_124:                              ; =>This Inner Loop Header: Depth=1
	v_cmp_eq_u32_e32 vcc, 1, v31
	v_cmp_eq_u32_e64 s[0:1], 2, v31
	v_cmp_eq_u32_e64 s[2:3], 3, v31
	v_cndmask_b32_e32 v34, v113, v111, vcc
	v_cndmask_b32_e32 v35, v112, v110, vcc
	v_cndmask_b32_e64 v34, v34, v109, s[0:1]
	v_cndmask_b32_e64 v35, v35, v108, s[0:1]
	;; [unrolled: 1-line block ×3, first 2 shown]
	v_cmp_eq_u32_e64 s[4:5], 4, v31
	v_cndmask_b32_e64 v35, v35, v52, s[2:3]
	v_cmp_eq_u32_e64 s[6:7], 5, v31
	v_cndmask_b32_e64 v34, v34, v55, s[4:5]
	v_cndmask_b32_e64 v35, v35, v54, s[4:5]
	;; [unrolled: 1-line block ×3, first 2 shown]
	v_cmp_eq_u32_e64 s[8:9], 6, v31
	v_cndmask_b32_e64 v35, v35, v68, s[6:7]
	v_cmp_eq_u32_e64 s[10:11], 7, v31
	v_cndmask_b32_e64 v34, v34, v49, s[8:9]
	v_cndmask_b32_e64 v35, v35, v66, s[8:9]
	;; [unrolled: 1-line block ×3, first 2 shown]
	v_cmp_eq_u32_e64 s[12:13], 8, v31
	v_cndmask_b32_e64 v36, v35, v64, s[10:11]
	v_cndmask_b32_e32 v37, v178, v116, vcc
	v_cndmask_b32_e64 v35, v34, v33, s[12:13]
	v_cndmask_b32_e64 v34, v36, v48, s[12:13]
	v_cndmask_b32_e32 v36, v179, v117, vcc
	v_cndmask_b32_e64 v36, v36, v115, s[0:1]
	v_cndmask_b32_e64 v37, v37, v114, s[0:1]
	;; [unrolled: 1-line block ×14, first 2 shown]
	v_add_f64 v[38:39], v[34:35], -v[8:9]
	v_mul_f64 v[28:29], v[38:39], v[28:29]
	v_add_f64 v[42:43], v[36:37], -v[10:11]
	v_fma_f64 v[26:27], v[42:43], v[26:27], -v[28:29]
	v_cndmask_b32_e32 v28, v255, v185, vcc
	v_cndmask_b32_e32 v29, v254, v184, vcc
	v_cndmask_b32_e64 v28, v28, v181, s[0:1]
	v_cndmask_b32_e64 v29, v29, v180, s[0:1]
	;; [unrolled: 1-line block ×14, first 2 shown]
	v_fma_f64 v[46:47], v[24:25], v[24:25], v[20:21]
	v_fmac_f64_e32 v[46:47], v[44:45], v[44:45]
	v_fmac_f64_e32 v[46:47], v[12:13], v[24:25]
	;; [unrolled: 1-line block ×3, first 2 shown]
	v_add_f64 v[50:51], v[12:13], v[24:25]
	v_add_f64 v[28:29], v[8:9], v[22:23]
	v_fma_f64 v[22:23], v[22:23], v[24:25], v[16:17]
	v_fmac_f64_e32 v[46:47], v[44:45], v[24:25]
	v_fma_f64 v[24:25], v[14:15], v[24:25], v[18:19]
	v_add_f64 v[14:15], v[10:11], v[14:15]
	v_add_f64 v[50:51], v[44:45], v[50:51]
	;; [unrolled: 1-line block ×3, first 2 shown]
	v_fmac_f64_e32 v[6:7], v[50:51], v[26:27]
	v_mul_f64 v[50:51], v[50:51], v[26:27]
	v_mul_f64 v[14:15], v[14:15], v[50:51]
	v_fmac_f64_e32 v[24:25], v[36:37], v[44:45]
	v_fmac_f64_e32 v[14:15], v[24:25], v[26:27]
	v_add_f64 v[2:3], v[2:3], v[14:15]
	v_lshl_add_u32 v14, v31, 2, v30
	scratch_load_dword v31, v14, off
	v_add_f64 v[28:29], v[28:29], v[34:35]
	v_mul_f64 v[28:29], v[28:29], v[50:51]
	v_fmac_f64_e32 v[22:23], v[44:45], v[34:35]
	v_fmac_f64_e32 v[28:29], v[22:23], v[26:27]
	;; [unrolled: 1-line block ×3, first 2 shown]
	v_add_f64 v[0:1], v[0:1], v[28:29]
	v_mov_b64_e32 v[22:23], v[34:35]
	v_mov_b64_e32 v[14:15], v[36:37]
	;; [unrolled: 1-line block ×5, first 2 shown]
	s_waitcnt vmcnt(0)
	v_cmp_gt_i32_e32 vcc, 0, v31
	s_or_b64 s[18:19], vcc, s[18:19]
	s_andn2_b64 exec, exec, s[18:19]
	s_cbranch_execnz .LBB4_124
; %bb.125:
	s_or_b64 exec, exec, s[18:19]
.LBB4_126:
	s_or_b64 exec, exec, s[16:17]
.LBB4_127:
	s_or_b64 exec, exec, s[14:15]
	scratch_load_dwordx2 v[8:9], off, off offset:2896 ; 8-byte Folded Reload
	s_mov_b32 s1, 0x3fc55555
	s_mov_b32 s0, 0x55555555
	v_mul_f64 v[6:7], v[6:7], s[0:1]
	s_mov_b32 s1, 0x3fa55555
	v_mul_f64 v[0:1], v[0:1], s[0:1]
	v_accvgpr_read_b32 v11, a252            ;  Reload Reuse
	v_accvgpr_read_b32 v10, a253            ;  Reload Reuse
	v_mul_f64 v[2:3], v[2:3], s[0:1]
	v_accvgpr_read_b32 v17, a254            ;  Reload Reuse
	v_mul_f64 v[4:5], v[4:5], s[0:1]
	v_accvgpr_read_b32 v16, a255            ;  Reload Reuse
	v_accvgpr_read_b32 v37, a248            ;  Reload Reuse
	;; [unrolled: 1-line block ×3, first 2 shown]
	scratch_load_dwordx2 v[12:13], off, off offset:2848 ; 8-byte Folded Reload
	scratch_load_dwordx2 v[14:15], off, off offset:2808 ; 8-byte Folded Reload
	s_waitcnt vmcnt(0)
	v_accvgpr_read_b32 v15, a250            ;  Reload Reuse
	v_accvgpr_read_b32 v14, a251            ;  Reload Reuse
	v_mul_f64 v[8:9], v[8:9], v[0:1]
	v_fmac_f64_e32 v[8:9], v[10:11], v[6:7]
	scratch_load_dwordx2 v[10:11], off, off offset:2888 ; 8-byte Folded Reload
	s_waitcnt vmcnt(0)
	v_fmac_f64_e32 v[8:9], v[10:11], v[2:3]
	scratch_load_dwordx2 v[10:11], off, off offset:2840 ; 8-byte Folded Reload
	s_waitcnt vmcnt(0)
	v_fmac_f64_e32 v[8:9], v[10:11], v[4:5]
	v_mul_f64 v[8:9], v[12:13], v[8:9]
	v_add_f64 v[18:19], v[8:9], 0
	scratch_load_dwordx2 v[8:9], off, off offset:2880 ; 8-byte Folded Reload
	scratch_load_dwordx2 v[10:11], off, off offset:2872 ; 8-byte Folded Reload
	s_waitcnt vmcnt(1)
	v_mul_f64 v[8:9], v[8:9], v[0:1]
	v_fmac_f64_e32 v[8:9], v[16:17], v[6:7]
	s_waitcnt vmcnt(0)
	v_fmac_f64_e32 v[8:9], v[10:11], v[2:3]
	scratch_load_dwordx2 v[10:11], off, off offset:2832 ; 8-byte Folded Reload
	s_waitcnt vmcnt(0)
	v_fmac_f64_e32 v[8:9], v[10:11], v[4:5]
	v_mul_f64 v[8:9], v[12:13], v[8:9]
	v_add_f64 v[20:21], v[8:9], 0
	scratch_load_dwordx2 v[8:9], off, off offset:2864 ; 8-byte Folded Reload
	s_waitcnt vmcnt(0)
	v_mul_f64 v[0:1], v[8:9], v[0:1]
	scratch_load_dwordx4 v[8:11], off, off offset:2792 ; 16-byte Folded Reload
	scratch_load_dwordx2 v[8:9], off, off offset:2856 ; 8-byte Folded Reload
	s_waitcnt vmcnt(1)
	v_fmac_f64_e32 v[0:1], v[10:11], v[6:7]
	s_waitcnt vmcnt(0)
	v_fmac_f64_e32 v[0:1], v[8:9], v[2:3]
	scratch_load_dwordx2 v[2:3], off, off offset:2824 ; 8-byte Folded Reload
	s_waitcnt vmcnt(0)
	v_fmac_f64_e32 v[0:1], v[2:3], v[4:5]
	v_mul_f64 v[0:1], v[12:13], v[0:1]
	v_add_f64 v[22:23], v[0:1], 0
	v_mul_f64 v[0:1], v[12:13], v[6:7]
	v_add_f64 v[24:25], v[0:1], 0
.LBB4_128:
	s_or_b64 exec, exec, s[50:51]
	s_movk_i32 s2, 0x48
	v_mad_u64_u32 v[2:3], s[0:1], v14, s2, 0
	v_mov_b32_e32 v4, v3
	v_mad_u64_u32 v[4:5], s[0:1], v15, s2, v[4:5]
	v_and_b32_e32 v0, 0xffffffc0, v36
	v_mov_b32_e32 v1, v37
	v_mov_b32_e32 v3, v4
	v_mov_b64_e32 v[4:5], 0
	v_cmp_gt_i64_e32 vcc, v[2:3], v[0:1]
	v_mov_b64_e32 v[2:3], v[24:25]
	v_mov_b64_e32 v[6:7], v[18:19]
	v_mov_b64_e32 v[8:9], v[20:21]
	v_mov_b64_e32 v[10:11], v[22:23]
	v_mov_b64_e32 v[12:13], v[4:5]
	v_mov_b64_e32 v[14:15], v[4:5]
	v_mov_b64_e32 v[16:17], v[4:5]
	s_and_saveexec_b64 s[0:1], vcc
; %bb.129:
	v_mov_b64_e32 v[2:3], 0
	v_mov_b64_e32 v[6:7], v[2:3]
	v_mov_b64_e32 v[8:9], v[2:3]
	v_mov_b64_e32 v[10:11], v[2:3]
	v_mov_b64_e32 v[4:5], v[22:23]
	v_mov_b64_e32 v[12:13], v[20:21]
	v_mov_b64_e32 v[14:15], v[18:19]
	v_mov_b64_e32 v[16:17], v[24:25]
; %bb.130:
	s_or_b64 exec, exec, s[0:1]
	v_mbcnt_lo_u32_b32 v18, -1, 0
	v_mbcnt_hi_u32_b32 v18, -1, v18
	v_and_b32_e32 v19, 64, v18
	v_add_u32_e32 v19, 64, v19
	s_mov_b64 s[0:1], 1
	s_waitcnt lgkmcnt(0)
	; wave barrier
.LBB4_131:                              ; =>This Inner Loop Header: Depth=1
	v_xor_b32_e32 v20, s0, v18
	v_cmp_lt_i32_e32 vcc, v20, v19
	s_lshl_b64 s[2:3], s[0:1], 1
	v_cmp_gt_u64_e64 s[0:1], s[0:1], 31
	v_cndmask_b32_e32 v20, v18, v20, vcc
	v_lshlrev_b32_e32 v35, 2, v20
	ds_bpermute_b32 v20, v35, v16
	ds_bpermute_b32 v21, v35, v17
	;; [unrolled: 1-line block ×16, first 2 shown]
	s_and_b64 vcc, exec, s[0:1]
	s_mov_b64 s[0:1], s[2:3]
	s_waitcnt lgkmcnt(14)
	v_add_f64 v[16:17], v[16:17], v[20:21]
	s_waitcnt lgkmcnt(12)
	v_add_f64 v[14:15], v[14:15], v[22:23]
	s_waitcnt lgkmcnt(10)
	v_add_f64 v[12:13], v[12:13], v[24:25]
	s_waitcnt lgkmcnt(8)
	v_add_f64 v[4:5], v[4:5], v[26:27]
	s_waitcnt lgkmcnt(6)
	v_add_f64 v[2:3], v[2:3], v[28:29]
	s_waitcnt lgkmcnt(4)
	v_add_f64 v[6:7], v[6:7], v[30:31]
	s_waitcnt lgkmcnt(2)
	v_add_f64 v[8:9], v[8:9], v[32:33]
	s_waitcnt lgkmcnt(0)
	v_add_f64 v[10:11], v[10:11], v[34:35]
	s_cbranch_vccz .LBB4_131
; %bb.132:
	v_and_b32_e32 v18, 63, v36
	v_mov_b32_e32 v19, 0
	v_cmp_eq_u64_e32 vcc, 0, v[18:19]
	s_and_saveexec_b64 s[0:1], vcc
	s_cbranch_execz .LBB4_134
; %bb.133:
	ds_write2_b64 v19, v[2:3], v[6:7] offset1:2
	ds_write2_b64 v19, v[8:9], v[10:11] offset0:4 offset1:6
	ds_write2_b64 v19, v[16:17], v[14:15] offset0:8 offset1:10
	;; [unrolled: 1-line block ×3, first 2 shown]
.LBB4_134:
	s_or_b64 exec, exec, s[0:1]
	v_cmp_gt_u64_e32 vcc, 8, v[18:19]
	s_waitcnt lgkmcnt(0)
	; wave barrier
	s_waitcnt lgkmcnt(0)
	s_and_b64 exec, exec, vcc
	s_cbranch_execz .LBB4_136
; %bb.135:
	v_lshlrev_b32_e32 v2, 4, v18
	ds_read_b64 v[2:3], v2
	v_lshl_add_u64 v[0:1], s[48:49], 0, v[0:1]
	v_lshlrev_b32_e32 v4, 3, v18
	v_mov_b32_e32 v5, 0
	v_lshl_add_u64 v[0:1], v[0:1], 0, v[4:5]
	s_waitcnt lgkmcnt(0)
	global_store_dwordx2 v[0:1], v[2:3], off
.LBB4_136:
	s_endpgm
	.section	.rodata,"a",@progbits
	.p2align	6, 0x0
	.amdhsa_kernel _ZN4RAJA6policy3hip4impl18forallp_hip_kernelINS1_8hip_execINS_17iteration_mapping6DirectENS_3hip11IndexGlobalILNS_9named_dimE0ELi64ELi0EEENS7_40AvoidDeviceMaxThreadOccupancyConcretizerINS7_34FractionOffsetOccupancyConcretizerINS_8FractionImLm1ELm1EEELln1EEEEELb1EEENS_9Iterators16numeric_iteratorIllPlEEZN8rajaperf4apps12INTSC_HEXHEX17runHipVariantImplILm64EEEvNSM_9VariantIDEEUllE1_lNS_4expt15ForallParamPackIJEEES6_SA_TnNSt9enable_ifIXaasr3std10is_base_ofINS5_10DirectBaseET4_EE5valuegtsrT5_10block_sizeLi0EEmE4typeELm64EEEvT1_T0_T2_T3_
		.amdhsa_group_segment_fixed_size 128
		.amdhsa_private_segment_fixed_size 2912
		.amdhsa_kernarg_size 52
		.amdhsa_user_sgpr_count 2
		.amdhsa_user_sgpr_dispatch_ptr 0
		.amdhsa_user_sgpr_queue_ptr 0
		.amdhsa_user_sgpr_kernarg_segment_ptr 1
		.amdhsa_user_sgpr_dispatch_id 0
		.amdhsa_user_sgpr_kernarg_preload_length 0
		.amdhsa_user_sgpr_kernarg_preload_offset 0
		.amdhsa_user_sgpr_private_segment_size 0
		.amdhsa_uses_dynamic_stack 0
		.amdhsa_enable_private_segment 1
		.amdhsa_system_sgpr_workgroup_id_x 1
		.amdhsa_system_sgpr_workgroup_id_y 0
		.amdhsa_system_sgpr_workgroup_id_z 0
		.amdhsa_system_sgpr_workgroup_info 0
		.amdhsa_system_vgpr_workitem_id 0
		.amdhsa_next_free_vgpr 512
		.amdhsa_next_free_sgpr 54
		.amdhsa_accum_offset 256
		.amdhsa_reserve_vcc 1
		.amdhsa_float_round_mode_32 0
		.amdhsa_float_round_mode_16_64 0
		.amdhsa_float_denorm_mode_32 3
		.amdhsa_float_denorm_mode_16_64 3
		.amdhsa_dx10_clamp 1
		.amdhsa_ieee_mode 1
		.amdhsa_fp16_overflow 0
		.amdhsa_tg_split 0
		.amdhsa_exception_fp_ieee_invalid_op 0
		.amdhsa_exception_fp_denorm_src 0
		.amdhsa_exception_fp_ieee_div_zero 0
		.amdhsa_exception_fp_ieee_overflow 0
		.amdhsa_exception_fp_ieee_underflow 0
		.amdhsa_exception_fp_ieee_inexact 0
		.amdhsa_exception_int_div_zero 0
	.end_amdhsa_kernel
	.section	.text._ZN4RAJA6policy3hip4impl18forallp_hip_kernelINS1_8hip_execINS_17iteration_mapping6DirectENS_3hip11IndexGlobalILNS_9named_dimE0ELi64ELi0EEENS7_40AvoidDeviceMaxThreadOccupancyConcretizerINS7_34FractionOffsetOccupancyConcretizerINS_8FractionImLm1ELm1EEELln1EEEEELb1EEENS_9Iterators16numeric_iteratorIllPlEEZN8rajaperf4apps12INTSC_HEXHEX17runHipVariantImplILm64EEEvNSM_9VariantIDEEUllE1_lNS_4expt15ForallParamPackIJEEES6_SA_TnNSt9enable_ifIXaasr3std10is_base_ofINS5_10DirectBaseET4_EE5valuegtsrT5_10block_sizeLi0EEmE4typeELm64EEEvT1_T0_T2_T3_,"axG",@progbits,_ZN4RAJA6policy3hip4impl18forallp_hip_kernelINS1_8hip_execINS_17iteration_mapping6DirectENS_3hip11IndexGlobalILNS_9named_dimE0ELi64ELi0EEENS7_40AvoidDeviceMaxThreadOccupancyConcretizerINS7_34FractionOffsetOccupancyConcretizerINS_8FractionImLm1ELm1EEELln1EEEEELb1EEENS_9Iterators16numeric_iteratorIllPlEEZN8rajaperf4apps12INTSC_HEXHEX17runHipVariantImplILm64EEEvNSM_9VariantIDEEUllE1_lNS_4expt15ForallParamPackIJEEES6_SA_TnNSt9enable_ifIXaasr3std10is_base_ofINS5_10DirectBaseET4_EE5valuegtsrT5_10block_sizeLi0EEmE4typeELm64EEEvT1_T0_T2_T3_,comdat
.Lfunc_end4:
	.size	_ZN4RAJA6policy3hip4impl18forallp_hip_kernelINS1_8hip_execINS_17iteration_mapping6DirectENS_3hip11IndexGlobalILNS_9named_dimE0ELi64ELi0EEENS7_40AvoidDeviceMaxThreadOccupancyConcretizerINS7_34FractionOffsetOccupancyConcretizerINS_8FractionImLm1ELm1EEELln1EEEEELb1EEENS_9Iterators16numeric_iteratorIllPlEEZN8rajaperf4apps12INTSC_HEXHEX17runHipVariantImplILm64EEEvNSM_9VariantIDEEUllE1_lNS_4expt15ForallParamPackIJEEES6_SA_TnNSt9enable_ifIXaasr3std10is_base_ofINS5_10DirectBaseET4_EE5valuegtsrT5_10block_sizeLi0EEmE4typeELm64EEEvT1_T0_T2_T3_, .Lfunc_end4-_ZN4RAJA6policy3hip4impl18forallp_hip_kernelINS1_8hip_execINS_17iteration_mapping6DirectENS_3hip11IndexGlobalILNS_9named_dimE0ELi64ELi0EEENS7_40AvoidDeviceMaxThreadOccupancyConcretizerINS7_34FractionOffsetOccupancyConcretizerINS_8FractionImLm1ELm1EEELln1EEEEELb1EEENS_9Iterators16numeric_iteratorIllPlEEZN8rajaperf4apps12INTSC_HEXHEX17runHipVariantImplILm64EEEvNSM_9VariantIDEEUllE1_lNS_4expt15ForallParamPackIJEEES6_SA_TnNSt9enable_ifIXaasr3std10is_base_ofINS5_10DirectBaseET4_EE5valuegtsrT5_10block_sizeLi0EEmE4typeELm64EEEvT1_T0_T2_T3_
                                        ; -- End function
	.section	.AMDGPU.csdata,"",@progbits
; Kernel info:
; codeLenInByte = 61760
; NumSgprs: 60
; NumVgprs: 256
; NumAgprs: 256
; TotalNumVgprs: 512
; ScratchSize: 2912
; MemoryBound: 0
; FloatMode: 240
; IeeeMode: 1
; LDSByteSize: 128 bytes/workgroup (compile time only)
; SGPRBlocks: 7
; VGPRBlocks: 63
; NumSGPRsForWavesPerEU: 60
; NumVGPRsForWavesPerEU: 512
; AccumOffset: 256
; Occupancy: 1
; WaveLimiterHint : 0
; COMPUTE_PGM_RSRC2:SCRATCH_EN: 1
; COMPUTE_PGM_RSRC2:USER_SGPR: 2
; COMPUTE_PGM_RSRC2:TRAP_HANDLER: 0
; COMPUTE_PGM_RSRC2:TGID_X_EN: 1
; COMPUTE_PGM_RSRC2:TGID_Y_EN: 0
; COMPUTE_PGM_RSRC2:TGID_Z_EN: 0
; COMPUTE_PGM_RSRC2:TIDIG_COMP_CNT: 0
; COMPUTE_PGM_RSRC3_GFX90A:ACCUM_OFFSET: 63
; COMPUTE_PGM_RSRC3_GFX90A:TG_SPLIT: 0
	.section	.text._ZN4RAJA6policy3hip4impl18forallp_hip_kernelINS1_8hip_execINS_17iteration_mapping6DirectENS_3hip11IndexGlobalILNS_9named_dimE0ELi64ELi0EEENS7_40AvoidDeviceMaxThreadOccupancyConcretizerINS7_34FractionOffsetOccupancyConcretizerINS_8FractionImLm1ELm1EEELln1EEEEELb1EEENS_9Iterators16numeric_iteratorIllPlEEZN8rajaperf4apps12INTSC_HEXHEX17runHipVariantImplILm64EEEvNSM_9VariantIDEEUllE2_lNS_4expt15ForallParamPackIJEEES6_SA_TnNSt9enable_ifIXaasr3std10is_base_ofINS5_10DirectBaseET4_EE5valuegtsrT5_10block_sizeLi0EEmE4typeELm64EEEvT1_T0_T2_T3_,"axG",@progbits,_ZN4RAJA6policy3hip4impl18forallp_hip_kernelINS1_8hip_execINS_17iteration_mapping6DirectENS_3hip11IndexGlobalILNS_9named_dimE0ELi64ELi0EEENS7_40AvoidDeviceMaxThreadOccupancyConcretizerINS7_34FractionOffsetOccupancyConcretizerINS_8FractionImLm1ELm1EEELln1EEEEELb1EEENS_9Iterators16numeric_iteratorIllPlEEZN8rajaperf4apps12INTSC_HEXHEX17runHipVariantImplILm64EEEvNSM_9VariantIDEEUllE2_lNS_4expt15ForallParamPackIJEEES6_SA_TnNSt9enable_ifIXaasr3std10is_base_ofINS5_10DirectBaseET4_EE5valuegtsrT5_10block_sizeLi0EEmE4typeELm64EEEvT1_T0_T2_T3_,comdat
	.protected	_ZN4RAJA6policy3hip4impl18forallp_hip_kernelINS1_8hip_execINS_17iteration_mapping6DirectENS_3hip11IndexGlobalILNS_9named_dimE0ELi64ELi0EEENS7_40AvoidDeviceMaxThreadOccupancyConcretizerINS7_34FractionOffsetOccupancyConcretizerINS_8FractionImLm1ELm1EEELln1EEEEELb1EEENS_9Iterators16numeric_iteratorIllPlEEZN8rajaperf4apps12INTSC_HEXHEX17runHipVariantImplILm64EEEvNSM_9VariantIDEEUllE2_lNS_4expt15ForallParamPackIJEEES6_SA_TnNSt9enable_ifIXaasr3std10is_base_ofINS5_10DirectBaseET4_EE5valuegtsrT5_10block_sizeLi0EEmE4typeELm64EEEvT1_T0_T2_T3_ ; -- Begin function _ZN4RAJA6policy3hip4impl18forallp_hip_kernelINS1_8hip_execINS_17iteration_mapping6DirectENS_3hip11IndexGlobalILNS_9named_dimE0ELi64ELi0EEENS7_40AvoidDeviceMaxThreadOccupancyConcretizerINS7_34FractionOffsetOccupancyConcretizerINS_8FractionImLm1ELm1EEELln1EEEEELb1EEENS_9Iterators16numeric_iteratorIllPlEEZN8rajaperf4apps12INTSC_HEXHEX17runHipVariantImplILm64EEEvNSM_9VariantIDEEUllE2_lNS_4expt15ForallParamPackIJEEES6_SA_TnNSt9enable_ifIXaasr3std10is_base_ofINS5_10DirectBaseET4_EE5valuegtsrT5_10block_sizeLi0EEmE4typeELm64EEEvT1_T0_T2_T3_
	.globl	_ZN4RAJA6policy3hip4impl18forallp_hip_kernelINS1_8hip_execINS_17iteration_mapping6DirectENS_3hip11IndexGlobalILNS_9named_dimE0ELi64ELi0EEENS7_40AvoidDeviceMaxThreadOccupancyConcretizerINS7_34FractionOffsetOccupancyConcretizerINS_8FractionImLm1ELm1EEELln1EEEEELb1EEENS_9Iterators16numeric_iteratorIllPlEEZN8rajaperf4apps12INTSC_HEXHEX17runHipVariantImplILm64EEEvNSM_9VariantIDEEUllE2_lNS_4expt15ForallParamPackIJEEES6_SA_TnNSt9enable_ifIXaasr3std10is_base_ofINS5_10DirectBaseET4_EE5valuegtsrT5_10block_sizeLi0EEmE4typeELm64EEEvT1_T0_T2_T3_
	.p2align	8
	.type	_ZN4RAJA6policy3hip4impl18forallp_hip_kernelINS1_8hip_execINS_17iteration_mapping6DirectENS_3hip11IndexGlobalILNS_9named_dimE0ELi64ELi0EEENS7_40AvoidDeviceMaxThreadOccupancyConcretizerINS7_34FractionOffsetOccupancyConcretizerINS_8FractionImLm1ELm1EEELln1EEEEELb1EEENS_9Iterators16numeric_iteratorIllPlEEZN8rajaperf4apps12INTSC_HEXHEX17runHipVariantImplILm64EEEvNSM_9VariantIDEEUllE2_lNS_4expt15ForallParamPackIJEEES6_SA_TnNSt9enable_ifIXaasr3std10is_base_ofINS5_10DirectBaseET4_EE5valuegtsrT5_10block_sizeLi0EEmE4typeELm64EEEvT1_T0_T2_T3_,@function
_ZN4RAJA6policy3hip4impl18forallp_hip_kernelINS1_8hip_execINS_17iteration_mapping6DirectENS_3hip11IndexGlobalILNS_9named_dimE0ELi64ELi0EEENS7_40AvoidDeviceMaxThreadOccupancyConcretizerINS7_34FractionOffsetOccupancyConcretizerINS_8FractionImLm1ELm1EEELln1EEEEELb1EEENS_9Iterators16numeric_iteratorIllPlEEZN8rajaperf4apps12INTSC_HEXHEX17runHipVariantImplILm64EEEvNSM_9VariantIDEEUllE2_lNS_4expt15ForallParamPackIJEEES6_SA_TnNSt9enable_ifIXaasr3std10is_base_ofINS5_10DirectBaseET4_EE5valuegtsrT5_10block_sizeLi0EEmE4typeELm64EEEvT1_T0_T2_T3_: ; @_ZN4RAJA6policy3hip4impl18forallp_hip_kernelINS1_8hip_execINS_17iteration_mapping6DirectENS_3hip11IndexGlobalILNS_9named_dimE0ELi64ELi0EEENS7_40AvoidDeviceMaxThreadOccupancyConcretizerINS7_34FractionOffsetOccupancyConcretizerINS_8FractionImLm1ELm1EEELln1EEEEELb1EEENS_9Iterators16numeric_iteratorIllPlEEZN8rajaperf4apps12INTSC_HEXHEX17runHipVariantImplILm64EEEvNSM_9VariantIDEEUllE2_lNS_4expt15ForallParamPackIJEEES6_SA_TnNSt9enable_ifIXaasr3std10is_base_ofINS5_10DirectBaseET4_EE5valuegtsrT5_10block_sizeLi0EEmE4typeELm64EEEvT1_T0_T2_T3_
; %bb.0:
	s_load_dwordx2 s[4:5], s[0:1], 0x20
	s_mov_b32 s3, 0
	s_lshl_b64 s[2:3], s[2:3], 6
	v_or_b32_e32 v0, s2, v0
	v_mov_b32_e32 v1, s3
	s_waitcnt lgkmcnt(0)
	v_cmp_gt_i64_e32 vcc, s[4:5], v[0:1]
	s_and_saveexec_b64 s[2:3], vcc
	s_cbranch_execz .LBB5_17
; %bb.1:
	s_load_dwordx8 s[0:7], s[0:1], 0x0
	s_movk_i32 s8, 0x240
	s_waitcnt lgkmcnt(0)
	v_lshl_add_u64 v[4:5], v[0:1], 0, s[6:7]
	v_mov_b32_e32 v2, s2
	v_mov_b32_e32 v3, s3
	v_lshlrev_b64 v[0:1], 8, v[4:5]
	v_lshl_add_u64 v[0:1], s[0:1], 0, v[0:1]
	v_mad_u64_u32 v[2:3], s[0:1], v4, s8, v[2:3]
	v_mov_b32_e32 v6, v3
	v_mad_u64_u32 v[6:7], s[0:1], v5, s8, v[6:7]
	v_lshlrev_b64 v[4:5], 3, v[4:5]
	v_mov_b32_e32 v3, v6
	v_cmp_gt_u64_e32 vcc, s[4:5], v[4:5]
	s_and_saveexec_b64 s[0:1], vcc
	s_cbranch_execz .LBB5_3
; %bb.2:
	global_load_dwordx2 v[6:7], v[2:3], off
	global_load_dwordx2 v[8:9], v[2:3], off offset:64
	s_waitcnt vmcnt(0)
	v_add_f64 v[6:7], v[6:7], v[8:9]
	global_store_dwordx2 v[0:1], v[6:7], off
	global_load_dwordx2 v[6:7], v[2:3], off offset:8
	s_nop 0
	global_load_dwordx2 v[8:9], v[2:3], off offset:72
	s_waitcnt vmcnt(0)
	v_add_f64 v[6:7], v[6:7], v[8:9]
	global_store_dwordx2 v[0:1], v[6:7], off offset:8
	global_load_dwordx2 v[6:7], v[2:3], off offset:16
	s_nop 0
	global_load_dwordx2 v[8:9], v[2:3], off offset:80
	s_waitcnt vmcnt(0)
	v_add_f64 v[6:7], v[6:7], v[8:9]
	global_store_dwordx2 v[0:1], v[6:7], off offset:16
	;; [unrolled: 6-line block ×3, first 2 shown]
.LBB5_3:
	s_or_b64 exec, exec, s[0:1]
	v_or_b32_e32 v6, 1, v4
	v_mov_b32_e32 v7, v5
	v_cmp_gt_u64_e32 vcc, s[4:5], v[6:7]
	s_and_saveexec_b64 s[0:1], vcc
	s_cbranch_execz .LBB5_5
; %bb.4:
	global_load_dwordx2 v[6:7], v[2:3], off offset:96
	global_load_dwordx2 v[8:9], v[2:3], off offset:128
	s_waitcnt vmcnt(0)
	v_add_f64 v[6:7], v[6:7], v[8:9]
	global_store_dwordx2 v[0:1], v[6:7], off offset:32
	global_load_dwordx2 v[6:7], v[2:3], off offset:104
	s_nop 0
	global_load_dwordx2 v[8:9], v[2:3], off offset:136
	s_waitcnt vmcnt(0)
	v_add_f64 v[6:7], v[6:7], v[8:9]
	global_store_dwordx2 v[0:1], v[6:7], off offset:40
	global_load_dwordx2 v[6:7], v[2:3], off offset:112
	s_nop 0
	global_load_dwordx2 v[8:9], v[2:3], off offset:144
	s_waitcnt vmcnt(0)
	v_add_f64 v[6:7], v[6:7], v[8:9]
	global_store_dwordx2 v[0:1], v[6:7], off offset:48
	global_load_dwordx2 v[6:7], v[2:3], off offset:120
	s_nop 0
	global_load_dwordx2 v[8:9], v[2:3], off offset:152
	s_waitcnt vmcnt(0)
	v_add_f64 v[6:7], v[6:7], v[8:9]
	global_store_dwordx2 v[0:1], v[6:7], off offset:56
.LBB5_5:
	s_or_b64 exec, exec, s[0:1]
	v_or_b32_e32 v6, 2, v4
	v_mov_b32_e32 v7, v5
	v_cmp_gt_u64_e32 vcc, s[4:5], v[6:7]
	s_and_saveexec_b64 s[0:1], vcc
	s_cbranch_execz .LBB5_7
; %bb.6:
	global_load_dwordx2 v[6:7], v[2:3], off offset:160
	global_load_dwordx2 v[8:9], v[2:3], off offset:192
	s_waitcnt vmcnt(0)
	v_add_f64 v[6:7], v[6:7], v[8:9]
	global_store_dwordx2 v[0:1], v[6:7], off offset:64
	global_load_dwordx2 v[6:7], v[2:3], off offset:168
	s_nop 0
	global_load_dwordx2 v[8:9], v[2:3], off offset:200
	s_waitcnt vmcnt(0)
	v_add_f64 v[6:7], v[6:7], v[8:9]
	global_store_dwordx2 v[0:1], v[6:7], off offset:72
	global_load_dwordx2 v[6:7], v[2:3], off offset:176
	s_nop 0
	global_load_dwordx2 v[8:9], v[2:3], off offset:208
	s_waitcnt vmcnt(0)
	v_add_f64 v[6:7], v[6:7], v[8:9]
	global_store_dwordx2 v[0:1], v[6:7], off offset:80
	global_load_dwordx2 v[6:7], v[2:3], off offset:184
	s_nop 0
	global_load_dwordx2 v[8:9], v[2:3], off offset:216
	s_waitcnt vmcnt(0)
	v_add_f64 v[6:7], v[6:7], v[8:9]
	global_store_dwordx2 v[0:1], v[6:7], off offset:88
.LBB5_7:
	;; [unrolled: 31-line block ×6, first 2 shown]
	s_or_b64 exec, exec, s[0:1]
	v_or_b32_e32 v4, 7, v4
	v_cmp_gt_u64_e32 vcc, s[4:5], v[4:5]
	s_and_b64 exec, exec, vcc
	s_cbranch_execz .LBB5_17
; %bb.16:
	global_load_dwordx2 v[4:5], v[2:3], off offset:480
	global_load_dwordx2 v[6:7], v[2:3], off offset:512
	s_waitcnt vmcnt(0)
	v_add_f64 v[4:5], v[4:5], v[6:7]
	global_store_dwordx2 v[0:1], v[4:5], off offset:224
	global_load_dwordx2 v[4:5], v[2:3], off offset:488
	s_nop 0
	global_load_dwordx2 v[6:7], v[2:3], off offset:520
	s_waitcnt vmcnt(0)
	v_add_f64 v[4:5], v[4:5], v[6:7]
	global_store_dwordx2 v[0:1], v[4:5], off offset:232
	global_load_dwordx2 v[4:5], v[2:3], off offset:496
	s_nop 0
	;; [unrolled: 6-line block ×3, first 2 shown]
	global_load_dwordx2 v[6:7], v[2:3], off offset:536
	s_waitcnt vmcnt(0)
	v_add_f64 v[2:3], v[4:5], v[6:7]
	global_store_dwordx2 v[0:1], v[2:3], off offset:248
.LBB5_17:
	s_endpgm
	.section	.rodata,"a",@progbits
	.p2align	6, 0x0
	.amdhsa_kernel _ZN4RAJA6policy3hip4impl18forallp_hip_kernelINS1_8hip_execINS_17iteration_mapping6DirectENS_3hip11IndexGlobalILNS_9named_dimE0ELi64ELi0EEENS7_40AvoidDeviceMaxThreadOccupancyConcretizerINS7_34FractionOffsetOccupancyConcretizerINS_8FractionImLm1ELm1EEELln1EEEEELb1EEENS_9Iterators16numeric_iteratorIllPlEEZN8rajaperf4apps12INTSC_HEXHEX17runHipVariantImplILm64EEEvNSM_9VariantIDEEUllE2_lNS_4expt15ForallParamPackIJEEES6_SA_TnNSt9enable_ifIXaasr3std10is_base_ofINS5_10DirectBaseET4_EE5valuegtsrT5_10block_sizeLi0EEmE4typeELm64EEEvT1_T0_T2_T3_
		.amdhsa_group_segment_fixed_size 0
		.amdhsa_private_segment_fixed_size 0
		.amdhsa_kernarg_size 44
		.amdhsa_user_sgpr_count 2
		.amdhsa_user_sgpr_dispatch_ptr 0
		.amdhsa_user_sgpr_queue_ptr 0
		.amdhsa_user_sgpr_kernarg_segment_ptr 1
		.amdhsa_user_sgpr_dispatch_id 0
		.amdhsa_user_sgpr_kernarg_preload_length 0
		.amdhsa_user_sgpr_kernarg_preload_offset 0
		.amdhsa_user_sgpr_private_segment_size 0
		.amdhsa_uses_dynamic_stack 0
		.amdhsa_enable_private_segment 0
		.amdhsa_system_sgpr_workgroup_id_x 1
		.amdhsa_system_sgpr_workgroup_id_y 0
		.amdhsa_system_sgpr_workgroup_id_z 0
		.amdhsa_system_sgpr_workgroup_info 0
		.amdhsa_system_vgpr_workitem_id 0
		.amdhsa_next_free_vgpr 10
		.amdhsa_next_free_sgpr 9
		.amdhsa_accum_offset 12
		.amdhsa_reserve_vcc 1
		.amdhsa_float_round_mode_32 0
		.amdhsa_float_round_mode_16_64 0
		.amdhsa_float_denorm_mode_32 3
		.amdhsa_float_denorm_mode_16_64 3
		.amdhsa_dx10_clamp 1
		.amdhsa_ieee_mode 1
		.amdhsa_fp16_overflow 0
		.amdhsa_tg_split 0
		.amdhsa_exception_fp_ieee_invalid_op 0
		.amdhsa_exception_fp_denorm_src 0
		.amdhsa_exception_fp_ieee_div_zero 0
		.amdhsa_exception_fp_ieee_overflow 0
		.amdhsa_exception_fp_ieee_underflow 0
		.amdhsa_exception_fp_ieee_inexact 0
		.amdhsa_exception_int_div_zero 0
	.end_amdhsa_kernel
	.section	.text._ZN4RAJA6policy3hip4impl18forallp_hip_kernelINS1_8hip_execINS_17iteration_mapping6DirectENS_3hip11IndexGlobalILNS_9named_dimE0ELi64ELi0EEENS7_40AvoidDeviceMaxThreadOccupancyConcretizerINS7_34FractionOffsetOccupancyConcretizerINS_8FractionImLm1ELm1EEELln1EEEEELb1EEENS_9Iterators16numeric_iteratorIllPlEEZN8rajaperf4apps12INTSC_HEXHEX17runHipVariantImplILm64EEEvNSM_9VariantIDEEUllE2_lNS_4expt15ForallParamPackIJEEES6_SA_TnNSt9enable_ifIXaasr3std10is_base_ofINS5_10DirectBaseET4_EE5valuegtsrT5_10block_sizeLi0EEmE4typeELm64EEEvT1_T0_T2_T3_,"axG",@progbits,_ZN4RAJA6policy3hip4impl18forallp_hip_kernelINS1_8hip_execINS_17iteration_mapping6DirectENS_3hip11IndexGlobalILNS_9named_dimE0ELi64ELi0EEENS7_40AvoidDeviceMaxThreadOccupancyConcretizerINS7_34FractionOffsetOccupancyConcretizerINS_8FractionImLm1ELm1EEELln1EEEEELb1EEENS_9Iterators16numeric_iteratorIllPlEEZN8rajaperf4apps12INTSC_HEXHEX17runHipVariantImplILm64EEEvNSM_9VariantIDEEUllE2_lNS_4expt15ForallParamPackIJEEES6_SA_TnNSt9enable_ifIXaasr3std10is_base_ofINS5_10DirectBaseET4_EE5valuegtsrT5_10block_sizeLi0EEmE4typeELm64EEEvT1_T0_T2_T3_,comdat
.Lfunc_end5:
	.size	_ZN4RAJA6policy3hip4impl18forallp_hip_kernelINS1_8hip_execINS_17iteration_mapping6DirectENS_3hip11IndexGlobalILNS_9named_dimE0ELi64ELi0EEENS7_40AvoidDeviceMaxThreadOccupancyConcretizerINS7_34FractionOffsetOccupancyConcretizerINS_8FractionImLm1ELm1EEELln1EEEEELb1EEENS_9Iterators16numeric_iteratorIllPlEEZN8rajaperf4apps12INTSC_HEXHEX17runHipVariantImplILm64EEEvNSM_9VariantIDEEUllE2_lNS_4expt15ForallParamPackIJEEES6_SA_TnNSt9enable_ifIXaasr3std10is_base_ofINS5_10DirectBaseET4_EE5valuegtsrT5_10block_sizeLi0EEmE4typeELm64EEEvT1_T0_T2_T3_, .Lfunc_end5-_ZN4RAJA6policy3hip4impl18forallp_hip_kernelINS1_8hip_execINS_17iteration_mapping6DirectENS_3hip11IndexGlobalILNS_9named_dimE0ELi64ELi0EEENS7_40AvoidDeviceMaxThreadOccupancyConcretizerINS7_34FractionOffsetOccupancyConcretizerINS_8FractionImLm1ELm1EEELln1EEEEELb1EEENS_9Iterators16numeric_iteratorIllPlEEZN8rajaperf4apps12INTSC_HEXHEX17runHipVariantImplILm64EEEvNSM_9VariantIDEEUllE2_lNS_4expt15ForallParamPackIJEEES6_SA_TnNSt9enable_ifIXaasr3std10is_base_ofINS5_10DirectBaseET4_EE5valuegtsrT5_10block_sizeLi0EEmE4typeELm64EEEvT1_T0_T2_T3_
                                        ; -- End function
	.section	.AMDGPU.csdata,"",@progbits
; Kernel info:
; codeLenInByte = 1548
; NumSgprs: 15
; NumVgprs: 10
; NumAgprs: 0
; TotalNumVgprs: 10
; ScratchSize: 0
; MemoryBound: 1
; FloatMode: 240
; IeeeMode: 1
; LDSByteSize: 0 bytes/workgroup (compile time only)
; SGPRBlocks: 1
; VGPRBlocks: 1
; NumSGPRsForWavesPerEU: 15
; NumVGPRsForWavesPerEU: 10
; AccumOffset: 12
; Occupancy: 8
; WaveLimiterHint : 1
; COMPUTE_PGM_RSRC2:SCRATCH_EN: 0
; COMPUTE_PGM_RSRC2:USER_SGPR: 2
; COMPUTE_PGM_RSRC2:TRAP_HANDLER: 0
; COMPUTE_PGM_RSRC2:TGID_X_EN: 1
; COMPUTE_PGM_RSRC2:TGID_Y_EN: 0
; COMPUTE_PGM_RSRC2:TGID_Z_EN: 0
; COMPUTE_PGM_RSRC2:TIDIG_COMP_CNT: 0
; COMPUTE_PGM_RSRC3_GFX90A:ACCUM_OFFSET: 2
; COMPUTE_PGM_RSRC3_GFX90A:TG_SPLIT: 0
	.text
	.p2alignl 6, 3212836864
	.fill 256, 4, 3212836864
	.type	__const._ZN8rajaperf14hex_intsc_subzEPKdS1_iiRdS2_S2_S2_.cyc_nod,@object ; @__const._ZN8rajaperf14hex_intsc_subzEPKdS1_iiRdS2_S2_S2_.cyc_nod
	.section	.rodata,"a",@progbits
	.p2align	4, 0x0
__const._ZN8rajaperf14hex_intsc_subzEPKdS1_iiRdS2_S2_S2_.cyc_nod:
	.long	1                               ; 0x1
	.long	5                               ; 0x5
	;; [unrolled: 1-line block ×7, first 2 shown]
	.size	__const._ZN8rajaperf14hex_intsc_subzEPKdS1_iiRdS2_S2_S2_.cyc_nod, 28

	.type	__const._ZN8rajaperf14hex_intsc_subzEPKdS1_iiRdS2_S2_S2_.vert_cyc,@object ; @__const._ZN8rajaperf14hex_intsc_subzEPKdS1_iiRdS2_S2_S2_.vert_cyc
	.p2align	4, 0x0
__const._ZN8rajaperf14hex_intsc_subzEPKdS1_iiRdS2_S2_S2_.vert_cyc:
	.long	1                               ; 0x1
	.long	3                               ; 0x3
	;; [unrolled: 1-line block ×6, first 2 shown]
	.size	__const._ZN8rajaperf14hex_intsc_subzEPKdS1_iiRdS2_S2_S2_.vert_cyc, 24

	.type	__hip_cuid_4da5d1ace236310,@object ; @__hip_cuid_4da5d1ace236310
	.section	.bss,"aw",@nobits
	.globl	__hip_cuid_4da5d1ace236310
__hip_cuid_4da5d1ace236310:
	.byte	0                               ; 0x0
	.size	__hip_cuid_4da5d1ace236310, 1

	.ident	"AMD clang version 19.0.0git (https://github.com/RadeonOpenCompute/llvm-project roc-6.4.0 25133 c7fe45cf4b819c5991fe208aaa96edf142730f1d)"
	.section	".note.GNU-stack","",@progbits
	.addrsig
	.addrsig_sym __hip_cuid_4da5d1ace236310
	.amdgpu_metadata
---
amdhsa.kernels:
  - .agpr_count:     0
    .args:
      - .address_space:  global
        .offset:         0
        .size:           8
        .value_kind:     global_buffer
      - .address_space:  global
        .offset:         8
        .size:           8
        .value_kind:     global_buffer
      - .offset:         16
        .size:           8
        .value_kind:     by_value
      - .address_space:  global
        .offset:         24
        .size:           8
        .value_kind:     global_buffer
    .group_segment_fixed_size: 128
    .kernarg_segment_align: 8
    .kernarg_segment_size: 32
    .language:       OpenCL C
    .language_version:
      - 2
      - 0
    .max_flat_workgroup_size: 64
    .name:           _ZN8rajaperf4apps16intsc_hexhex_hipILm64EEEvPdS2_mS2_
    .private_segment_fixed_size: 4816
    .sgpr_count:     62
    .sgpr_spill_count: 0
    .symbol:         _ZN8rajaperf4apps16intsc_hexhex_hipILm64EEEvPdS2_mS2_.kd
    .uniform_work_group_size: 1
    .uses_dynamic_stack: false
    .vgpr_count:     168
    .vgpr_spill_count: 5760
    .wavefront_size: 64
  - .agpr_count:     0
    .args:
      - .address_space:  global
        .offset:         0
        .size:           8
        .value_kind:     global_buffer
      - .offset:         8
        .size:           8
        .value_kind:     by_value
      - .address_space:  global
        .offset:         16
        .size:           8
        .value_kind:     global_buffer
    .group_segment_fixed_size: 0
    .kernarg_segment_align: 8
    .kernarg_segment_size: 24
    .language:       OpenCL C
    .language_version:
      - 2
      - 0
    .max_flat_workgroup_size: 1024
    .name:           _ZN8rajaperf4apps32intsc_hexhex_hip_fixup_vv_64to72ILm64EEEvPdmS2_
    .private_segment_fixed_size: 0
    .sgpr_count:     16
    .sgpr_spill_count: 0
    .symbol:         _ZN8rajaperf4apps32intsc_hexhex_hip_fixup_vv_64to72ILm64EEEvPdmS2_.kd
    .uniform_work_group_size: 1
    .uses_dynamic_stack: false
    .vgpr_count:     10
    .vgpr_spill_count: 0
    .wavefront_size: 64
  - .agpr_count:     256
    .args:
      - .offset:         0
        .size:           8
        .value_kind:     by_value
      - .offset:         8
        .size:           8
        .value_kind:     by_value
      - .offset:         16
        .size:           32
        .value_kind:     by_value
    .group_segment_fixed_size: 128
    .kernarg_segment_align: 8
    .kernarg_segment_size: 48
    .language:       OpenCL C
    .language_version:
      - 2
      - 0
    .max_flat_workgroup_size: 64
    .name:           _ZN8rajaperf17lambda_hip_forallILm64EZNS_4apps12INTSC_HEXHEX17runHipVariantImplILm64EEEvNS_9VariantIDEEUllE_EEvllT0_
    .private_segment_fixed_size: 2704
    .sgpr_count:     60
    .sgpr_spill_count: 0
    .symbol:         _ZN8rajaperf17lambda_hip_forallILm64EZNS_4apps12INTSC_HEXHEX17runHipVariantImplILm64EEEvNS_9VariantIDEEUllE_EEvllT0_.kd
    .uniform_work_group_size: 1
    .uses_dynamic_stack: false
    .vgpr_count:     512
    .vgpr_spill_count: 3051
    .wavefront_size: 64
  - .agpr_count:     0
    .args:
      - .offset:         0
        .size:           8
        .value_kind:     by_value
      - .offset:         8
        .size:           8
        .value_kind:     by_value
      - .offset:         16
        .size:           24
        .value_kind:     by_value
    .group_segment_fixed_size: 0
    .kernarg_segment_align: 8
    .kernarg_segment_size: 40
    .language:       OpenCL C
    .language_version:
      - 2
      - 0
    .max_flat_workgroup_size: 64
    .name:           _ZN8rajaperf17lambda_hip_forallILm64EZNS_4apps12INTSC_HEXHEX17runHipVariantImplILm64EEEvNS_9VariantIDEEUllE0_EEvllT0_
    .private_segment_fixed_size: 0
    .sgpr_count:     14
    .sgpr_spill_count: 0
    .symbol:         _ZN8rajaperf17lambda_hip_forallILm64EZNS_4apps12INTSC_HEXHEX17runHipVariantImplILm64EEEvNS_9VariantIDEEUllE0_EEvllT0_.kd
    .uniform_work_group_size: 1
    .uses_dynamic_stack: false
    .vgpr_count:     10
    .vgpr_spill_count: 0
    .wavefront_size: 64
  - .agpr_count:     256
    .args:
      - .offset:         0
        .size:           32
        .value_kind:     by_value
      - .offset:         32
        .size:           8
        .value_kind:     by_value
      - .offset:         40
        .size:           8
        .value_kind:     by_value
      - .offset:         48
        .size:           1
        .value_kind:     by_value
    .group_segment_fixed_size: 128
    .kernarg_segment_align: 8
    .kernarg_segment_size: 52
    .language:       OpenCL C
    .language_version:
      - 2
      - 0
    .max_flat_workgroup_size: 64
    .name:           _ZN4RAJA6policy3hip4impl18forallp_hip_kernelINS1_8hip_execINS_17iteration_mapping6DirectENS_3hip11IndexGlobalILNS_9named_dimE0ELi64ELi0EEENS7_40AvoidDeviceMaxThreadOccupancyConcretizerINS7_34FractionOffsetOccupancyConcretizerINS_8FractionImLm1ELm1EEELln1EEEEELb1EEENS_9Iterators16numeric_iteratorIllPlEEZN8rajaperf4apps12INTSC_HEXHEX17runHipVariantImplILm64EEEvNSM_9VariantIDEEUllE1_lNS_4expt15ForallParamPackIJEEES6_SA_TnNSt9enable_ifIXaasr3std10is_base_ofINS5_10DirectBaseET4_EE5valuegtsrT5_10block_sizeLi0EEmE4typeELm64EEEvT1_T0_T2_T3_
    .private_segment_fixed_size: 2912
    .sgpr_count:     60
    .sgpr_spill_count: 0
    .symbol:         _ZN4RAJA6policy3hip4impl18forallp_hip_kernelINS1_8hip_execINS_17iteration_mapping6DirectENS_3hip11IndexGlobalILNS_9named_dimE0ELi64ELi0EEENS7_40AvoidDeviceMaxThreadOccupancyConcretizerINS7_34FractionOffsetOccupancyConcretizerINS_8FractionImLm1ELm1EEELln1EEEEELb1EEENS_9Iterators16numeric_iteratorIllPlEEZN8rajaperf4apps12INTSC_HEXHEX17runHipVariantImplILm64EEEvNSM_9VariantIDEEUllE1_lNS_4expt15ForallParamPackIJEEES6_SA_TnNSt9enable_ifIXaasr3std10is_base_ofINS5_10DirectBaseET4_EE5valuegtsrT5_10block_sizeLi0EEmE4typeELm64EEEvT1_T0_T2_T3_.kd
    .uniform_work_group_size: 1
    .uses_dynamic_stack: false
    .vgpr_count:     512
    .vgpr_spill_count: 3652
    .wavefront_size: 64
  - .agpr_count:     0
    .args:
      - .offset:         0
        .size:           24
        .value_kind:     by_value
      - .offset:         24
        .size:           8
        .value_kind:     by_value
      - .offset:         32
        .size:           8
        .value_kind:     by_value
      - .offset:         40
        .size:           1
        .value_kind:     by_value
    .group_segment_fixed_size: 0
    .kernarg_segment_align: 8
    .kernarg_segment_size: 44
    .language:       OpenCL C
    .language_version:
      - 2
      - 0
    .max_flat_workgroup_size: 64
    .name:           _ZN4RAJA6policy3hip4impl18forallp_hip_kernelINS1_8hip_execINS_17iteration_mapping6DirectENS_3hip11IndexGlobalILNS_9named_dimE0ELi64ELi0EEENS7_40AvoidDeviceMaxThreadOccupancyConcretizerINS7_34FractionOffsetOccupancyConcretizerINS_8FractionImLm1ELm1EEELln1EEEEELb1EEENS_9Iterators16numeric_iteratorIllPlEEZN8rajaperf4apps12INTSC_HEXHEX17runHipVariantImplILm64EEEvNSM_9VariantIDEEUllE2_lNS_4expt15ForallParamPackIJEEES6_SA_TnNSt9enable_ifIXaasr3std10is_base_ofINS5_10DirectBaseET4_EE5valuegtsrT5_10block_sizeLi0EEmE4typeELm64EEEvT1_T0_T2_T3_
    .private_segment_fixed_size: 0
    .sgpr_count:     15
    .sgpr_spill_count: 0
    .symbol:         _ZN4RAJA6policy3hip4impl18forallp_hip_kernelINS1_8hip_execINS_17iteration_mapping6DirectENS_3hip11IndexGlobalILNS_9named_dimE0ELi64ELi0EEENS7_40AvoidDeviceMaxThreadOccupancyConcretizerINS7_34FractionOffsetOccupancyConcretizerINS_8FractionImLm1ELm1EEELln1EEEEELb1EEENS_9Iterators16numeric_iteratorIllPlEEZN8rajaperf4apps12INTSC_HEXHEX17runHipVariantImplILm64EEEvNSM_9VariantIDEEUllE2_lNS_4expt15ForallParamPackIJEEES6_SA_TnNSt9enable_ifIXaasr3std10is_base_ofINS5_10DirectBaseET4_EE5valuegtsrT5_10block_sizeLi0EEmE4typeELm64EEEvT1_T0_T2_T3_.kd
    .uniform_work_group_size: 1
    .uses_dynamic_stack: false
    .vgpr_count:     10
    .vgpr_spill_count: 0
    .wavefront_size: 64
amdhsa.target:   amdgcn-amd-amdhsa--gfx942
amdhsa.version:
  - 1
  - 2
...

	.end_amdgpu_metadata
